;; amdgpu-corpus repo=ROCm/rocFFT kind=compiled arch=gfx1201 opt=O3
	.text
	.amdgcn_target "amdgcn-amd-amdhsa--gfx1201"
	.amdhsa_code_object_version 6
	.protected	bluestein_single_fwd_len2025_dim1_dp_op_CI_CI ; -- Begin function bluestein_single_fwd_len2025_dim1_dp_op_CI_CI
	.globl	bluestein_single_fwd_len2025_dim1_dp_op_CI_CI
	.p2align	8
	.type	bluestein_single_fwd_len2025_dim1_dp_op_CI_CI,@function
bluestein_single_fwd_len2025_dim1_dp_op_CI_CI: ; @bluestein_single_fwd_len2025_dim1_dp_op_CI_CI
; %bb.0:
	s_load_b128 s[16:19], s[0:1], 0x28
	v_mul_u32_u24_e32 v1, 0x1e6, v0
	s_mov_b32 s2, exec_lo
	v_mov_b32_e32 v3, 0
	s_delay_alu instid0(VALU_DEP_2) | instskip(NEXT) | instid1(VALU_DEP_1)
	v_lshrrev_b32_e32 v1, 16, v1
	v_add_nc_u32_e32 v2, ttmp9, v1
	s_wait_kmcnt 0x0
	s_delay_alu instid0(VALU_DEP_1)
	v_cmpx_gt_u64_e64 s[16:17], v[2:3]
	s_cbranch_execz .LBB0_2
; %bb.1:
	s_clause 0x1
	s_load_b128 s[4:7], s[0:1], 0x18
	s_load_b128 s[8:11], s[0:1], 0x0
	v_mul_lo_u16 v1, 0x87, v1
	s_movk_i32 s2, 0xb410
	s_mov_b32 s3, -1
	s_mov_b32 s20, 0x134454ff
	s_mov_b32 s21, 0x3fee6f0e
	v_sub_nc_u16 v100, v0, v1
	s_mov_b32 s23, 0xbfee6f0e
	s_mov_b32 s22, s20
	;; [unrolled: 1-line block ×3, first 2 shown]
	s_delay_alu instid0(VALU_DEP_1)
	v_dual_mov_b32 v4, v2 :: v_dual_and_b32 v7, 0xffff, v100
	s_mov_b32 s25, 0x3fd3c6ef
	s_load_b64 s[0:1], s[0:1], 0x38
	scratch_store_b64 off, v[4:5], off      ; 8-byte Folded Spill
	v_mov_b32_e32 v59, v7
	s_wait_kmcnt 0x0
	s_load_b128 s[12:15], s[4:5], 0x0
	s_delay_alu instid0(VALU_DEP_1) | instskip(SKIP_4) | instid1(VALU_DEP_1)
	v_lshlrev_b32_e32 v44, 4, v59
	s_wait_kmcnt 0x0
	v_mad_co_u64_u32 v[0:1], null, s14, v2, 0
	v_mad_co_u64_u32 v[2:3], null, s12, v7, 0
	s_mul_u64 s[4:5], s[12:13], 0x2a30
	v_mad_co_u64_u32 v[4:5], null, s15, v4, v[1:2]
	s_mov_b32 s15, 0xbfebb67a
	s_delay_alu instid0(VALU_DEP_1) | instskip(SKIP_2) | instid1(VALU_DEP_1)
	v_mad_co_u64_u32 v[5:6], null, s13, v7, v[3:4]
	v_mov_b32_e32 v1, v4
	s_mul_u64 s[12:13], s[12:13], s[2:3]
	v_lshlrev_b64_e32 v[0:1], 4, v[0:1]
	s_delay_alu instid0(VALU_DEP_3) | instskip(NEXT) | instid1(VALU_DEP_2)
	v_mov_b32_e32 v3, v5
	v_add_co_u32 v0, vcc_lo, s18, v0
	s_delay_alu instid0(VALU_DEP_2) | instskip(NEXT) | instid1(VALU_DEP_4)
	v_lshlrev_b64_e32 v[2:3], 4, v[2:3]
	v_add_co_ci_u32_e32 v1, vcc_lo, s19, v1, vcc_lo
	s_mov_b32 s19, 0xbfe2cf23
	s_delay_alu instid0(VALU_DEP_2) | instskip(SKIP_1) | instid1(VALU_DEP_2)
	v_add_co_u32 v5, vcc_lo, v0, v2
	s_wait_alu 0xfffd
	v_add_co_ci_u32_e32 v6, vcc_lo, v1, v3, vcc_lo
	global_load_b128 v[16:19], v44, s[8:9]
	global_load_b128 v[1:4], v[5:6], off
	v_add_co_u32 v5, vcc_lo, v5, s4
	s_wait_alu 0xfffd
	v_add_co_ci_u32_e32 v6, vcc_lo, s5, v6, vcc_lo
	global_load_b128 v[22:25], v44, s[8:9] offset:10800
	global_load_b128 v[12:15], v[5:6], off
	global_load_b128 v[26:29], v44, s[8:9] offset:2160
	v_add_co_u32 v20, vcc_lo, v5, s4
	s_wait_alu 0xfffd
	v_add_co_ci_u32_e32 v21, vcc_lo, s5, v6, vcc_lo
	s_wait_loadcnt 0x4
	v_mov_b32_e32 v37, v19
	s_wait_loadcnt 0x3
	v_mul_f64_e32 v[7:8], v[3:4], v[18:19]
	v_mul_f64_e32 v[10:11], v[1:2], v[18:19]
	v_dual_mov_b32 v35, v17 :: v_dual_mov_b32 v34, v16
	v_mov_b32_e32 v36, v18
	global_load_b128 v[30:33], v44, s[8:9] offset:8640
	global_load_b128 v[16:19], v[20:21], off
	s_wait_loadcnt 0x3
	v_mul_f64_e32 v[5:6], v[14:15], v[24:25]
	v_add_co_u32 v101, null, 0x21c, v59
	scratch_store_b128 off, v[34:37], off offset:232 ; 16-byte Folded Spill
	v_fma_f64 v[8:9], v[1:2], v[34:35], v[7:8]
	v_fma_f64 v[10:11], v[3:4], v[34:35], -v[10:11]
	v_mul_f64_e32 v[2:3], v[12:13], v[24:25]
	global_load_b128 v[34:37], v44, s[8:9] offset:23760
	v_fma_f64 v[0:1], v[12:13], v[22:23], v[5:6]
	v_fma_f64 v[2:3], v[14:15], v[22:23], -v[2:3]
	global_load_b128 v[12:15], v44, s[8:9] offset:21600
	scratch_store_b128 off, v[22:25], off offset:8 ; 16-byte Folded Spill
	s_wait_loadcnt 0x0
	scratch_store_b128 off, v[12:15], off offset:24 ; 16-byte Folded Spill
	v_mul_f64_e32 v[4:5], v[18:19], v[14:15]
	v_mul_f64_e32 v[6:7], v[16:17], v[14:15]
	s_delay_alu instid0(VALU_DEP_2) | instskip(NEXT) | instid1(VALU_DEP_2)
	v_fma_f64 v[4:5], v[16:17], v[12:13], v[4:5]
	v_fma_f64 v[6:7], v[18:19], v[12:13], -v[6:7]
	s_wait_alu 0xfffe
	v_add_co_u32 v12, vcc_lo, v20, s12
	s_wait_alu 0xfffd
	v_add_co_ci_u32_e32 v13, vcc_lo, s13, v21, vcc_lo
	s_delay_alu instid0(VALU_DEP_2) | instskip(SKIP_1) | instid1(VALU_DEP_2)
	v_add_co_u32 v20, vcc_lo, v12, s4
	s_wait_alu 0xfffd
	v_add_co_ci_u32_e32 v21, vcc_lo, s5, v13, vcc_lo
	s_clause 0x1
	global_load_b128 v[12:15], v[12:13], off
	global_load_b128 v[16:19], v[20:21], off
	s_clause 0x1
	scratch_store_b128 off, v[26:29], off offset:40
	scratch_store_b128 off, v[34:37], off offset:72
	v_add_co_u32 v20, vcc_lo, v20, s4
	s_wait_alu 0xfffd
	v_add_co_ci_u32_e32 v21, vcc_lo, s5, v21, vcc_lo
	global_load_b128 v[38:41], v44, s[8:9] offset:15120
	s_wait_loadcnt 0x2
	v_mul_f64_e32 v[22:23], v[14:15], v[28:29]
	v_mul_f64_e32 v[24:25], v[12:13], v[28:29]
	s_delay_alu instid0(VALU_DEP_2) | instskip(NEXT) | instid1(VALU_DEP_2)
	v_fma_f64 v[12:13], v[12:13], v[26:27], v[22:23]
	v_fma_f64 v[14:15], v[14:15], v[26:27], -v[24:25]
	global_load_b128 v[26:29], v44, s[8:9] offset:12960
	s_wait_loadcnt 0x0
	v_mul_f64_e32 v[22:23], v[18:19], v[28:29]
	v_mul_f64_e32 v[24:25], v[16:17], v[28:29]
	scratch_store_b128 off, v[26:29], off offset:56 ; 16-byte Folded Spill
	v_fma_f64 v[16:17], v[16:17], v[26:27], v[22:23]
	v_fma_f64 v[18:19], v[18:19], v[26:27], -v[24:25]
	global_load_b128 v[24:27], v[20:21], off
	v_add_co_u32 v20, vcc_lo, v20, s12
	s_wait_alu 0xfffd
	v_add_co_ci_u32_e32 v21, vcc_lo, s13, v21, vcc_lo
	s_wait_loadcnt 0x0
	v_mul_f64_e32 v[22:23], v[26:27], v[36:37]
	v_mul_f64_e32 v[28:29], v[24:25], v[36:37]
	s_delay_alu instid0(VALU_DEP_2) | instskip(NEXT) | instid1(VALU_DEP_2)
	v_fma_f64 v[60:61], v[24:25], v[34:35], v[22:23]
	v_fma_f64 v[62:63], v[26:27], v[34:35], -v[28:29]
	global_load_b128 v[24:27], v[20:21], off
	global_load_b128 v[45:48], v44, s[8:9] offset:4320
	v_add_co_u32 v20, vcc_lo, v20, s4
	s_wait_alu 0xfffd
	v_add_co_ci_u32_e32 v21, vcc_lo, s5, v21, vcc_lo
	global_load_b128 v[34:37], v44, s[8:9] offset:6480
	scratch_store_b128 off, v[38:41], off offset:104 ; 16-byte Folded Spill
	s_wait_loadcnt 0x1
	v_mul_f64_e32 v[22:23], v[26:27], v[47:48]
	v_mul_f64_e32 v[28:29], v[24:25], v[47:48]
	scratch_store_b128 off, v[45:48], off offset:88 ; 16-byte Folded Spill
	v_fma_f64 v[64:65], v[24:25], v[45:46], v[22:23]
	v_fma_f64 v[66:67], v[26:27], v[45:46], -v[28:29]
	global_load_b128 v[24:27], v[20:21], off
	v_add_co_u32 v20, vcc_lo, v20, s4
	s_wait_alu 0xfffd
	v_add_co_ci_u32_e32 v21, vcc_lo, s5, v21, vcc_lo
	s_wait_loadcnt 0x0
	v_mul_f64_e32 v[22:23], v[26:27], v[40:41]
	v_mul_f64_e32 v[28:29], v[24:25], v[40:41]
	s_delay_alu instid0(VALU_DEP_2) | instskip(NEXT) | instid1(VALU_DEP_2)
	v_fma_f64 v[68:69], v[24:25], v[38:39], v[22:23]
	v_fma_f64 v[70:71], v[26:27], v[38:39], -v[28:29]
	global_load_b128 v[24:27], v[20:21], off
	global_load_b128 v[45:48], v44, s[8:9] offset:25920
	v_add_co_u32 v20, vcc_lo, v20, s12
	s_wait_alu 0xfffd
	v_add_co_ci_u32_e32 v21, vcc_lo, s13, v21, vcc_lo
	global_load_b128 v[38:41], v44, s[8:9] offset:28080
	scratch_store_b128 off, v[34:37], off offset:136 ; 16-byte Folded Spill
	s_wait_loadcnt 0x1
	v_mul_f64_e32 v[22:23], v[26:27], v[47:48]
	v_mul_f64_e32 v[28:29], v[24:25], v[47:48]
	scratch_store_b128 off, v[45:48], off offset:120 ; 16-byte Folded Spill
	v_fma_f64 v[72:73], v[24:25], v[45:46], v[22:23]
	v_fma_f64 v[74:75], v[26:27], v[45:46], -v[28:29]
	global_load_b128 v[24:27], v[20:21], off
	v_add_co_u32 v20, vcc_lo, v20, s4
	s_wait_alu 0xfffd
	v_add_co_ci_u32_e32 v21, vcc_lo, s5, v21, vcc_lo
	s_wait_loadcnt 0x0
	v_mul_f64_e32 v[22:23], v[26:27], v[36:37]
	v_mul_f64_e32 v[28:29], v[24:25], v[36:37]
	s_delay_alu instid0(VALU_DEP_2) | instskip(NEXT) | instid1(VALU_DEP_2)
	v_fma_f64 v[76:77], v[24:25], v[34:35], v[22:23]
	v_fma_f64 v[78:79], v[26:27], v[34:35], -v[28:29]
	global_load_b128 v[24:27], v[20:21], off
	global_load_b128 v[45:48], v44, s[8:9] offset:17280
	v_add_co_u32 v20, vcc_lo, v20, s4
	s_wait_alu 0xfffd
	v_add_co_ci_u32_e32 v21, vcc_lo, s5, v21, vcc_lo
	global_load_b128 v[34:37], v44, s[8:9] offset:19440
	s_clause 0x1
	scratch_store_b128 off, v[30:33], off offset:184
	scratch_store_b128 off, v[38:41], off offset:168
	s_wait_loadcnt 0x1
	v_mul_f64_e32 v[22:23], v[26:27], v[47:48]
	v_mul_f64_e32 v[28:29], v[24:25], v[47:48]
	scratch_store_b128 off, v[45:48], off offset:152 ; 16-byte Folded Spill
	s_wait_loadcnt 0x0
	scratch_store_b128 off, v[34:37], off offset:200 ; 16-byte Folded Spill
	v_fma_f64 v[80:81], v[24:25], v[45:46], v[22:23]
	v_fma_f64 v[82:83], v[26:27], v[45:46], -v[28:29]
	global_load_b128 v[24:27], v[20:21], off
	v_add_co_u32 v20, vcc_lo, v20, s12
	s_wait_alu 0xfffd
	v_add_co_ci_u32_e32 v21, vcc_lo, s13, v21, vcc_lo
	s_mov_b32 s12, 0xe8584caa
	s_mov_b32 s13, 0x3febb67a
	s_wait_alu 0xfffe
	s_mov_b32 s14, s12
	s_wait_loadcnt 0x0
	v_mul_f64_e32 v[22:23], v[26:27], v[40:41]
	v_mul_f64_e32 v[28:29], v[24:25], v[40:41]
	s_delay_alu instid0(VALU_DEP_2) | instskip(NEXT) | instid1(VALU_DEP_2)
	v_fma_f64 v[84:85], v[24:25], v[38:39], v[22:23]
	v_fma_f64 v[86:87], v[26:27], v[38:39], -v[28:29]
	global_load_b128 v[24:27], v[20:21], off
	v_add_co_u32 v20, vcc_lo, v20, s4
	s_wait_alu 0xfffd
	v_add_co_ci_u32_e32 v21, vcc_lo, s5, v21, vcc_lo
	s_wait_loadcnt 0x0
	v_mul_f64_e32 v[22:23], v[26:27], v[32:33]
	v_mul_f64_e32 v[28:29], v[24:25], v[32:33]
	s_delay_alu instid0(VALU_DEP_2) | instskip(NEXT) | instid1(VALU_DEP_2)
	v_fma_f64 v[88:89], v[24:25], v[30:31], v[22:23]
	v_fma_f64 v[90:91], v[26:27], v[30:31], -v[28:29]
	global_load_b128 v[24:27], v[20:21], off
	v_add_co_u32 v20, vcc_lo, v20, s4
	s_wait_alu 0xfffd
	v_add_co_ci_u32_e32 v21, vcc_lo, s5, v21, vcc_lo
	v_cmp_gt_u16_e32 vcc_lo, 0x5a, v100
	s_wait_loadcnt 0x0
	v_mul_f64_e32 v[22:23], v[26:27], v[36:37]
	v_mul_f64_e32 v[28:29], v[24:25], v[36:37]
	s_delay_alu instid0(VALU_DEP_2) | instskip(NEXT) | instid1(VALU_DEP_2)
	v_fma_f64 v[92:93], v[24:25], v[34:35], v[22:23]
	v_fma_f64 v[94:95], v[26:27], v[34:35], -v[28:29]
	global_load_b128 v[24:27], v[20:21], off
	global_load_b128 v[28:31], v44, s[8:9] offset:30240
	s_wait_loadcnt 0x0
	v_mul_f64_e32 v[20:21], v[26:27], v[30:31]
	v_mul_f64_e32 v[22:23], v[24:25], v[30:31]
	scratch_store_b128 off, v[28:31], off offset:216 ; 16-byte Folded Spill
	v_fma_f64 v[96:97], v[24:25], v[28:29], v[20:21]
	v_fma_f64 v[98:99], v[26:27], v[28:29], -v[22:23]
	ds_store_b128 v44, v[8:11]
	ds_store_b128 v44, v[12:15] offset:2160
	ds_store_b128 v44, v[4:7] offset:21600
	;; [unrolled: 1-line block ×14, first 2 shown]
	s_load_b128 s[4:7], s[6:7], 0x0
	global_wb scope:SCOPE_SE
	s_wait_storecnt_dscnt 0x0
	s_wait_kmcnt 0x0
	s_barrier_signal -1
	s_barrier_wait -1
	global_inv scope:SCOPE_SE
	ds_load_b128 v[1:4], v44 offset:10800
	ds_load_b128 v[16:19], v44
	ds_load_b128 v[24:27], v44 offset:2160
	ds_load_b128 v[28:31], v44 offset:8640
	;; [unrolled: 1-line block ×4, first 2 shown]
	v_add_co_u32 v99, s16, 0x87, v59
	s_mul_u64 s[2:3], s[4:5], s[2:3]
	s_wait_dscnt 0x4
	v_add_f64_e32 v[13:14], v[16:17], v[1:2]
	v_add_f64_e32 v[20:21], v[18:19], v[3:4]
	s_wait_dscnt 0x1
	v_add_f64_e32 v[22:23], v[1:2], v[5:6]
	v_add_f64_e32 v[36:37], v[3:4], v[7:8]
	v_add_f64_e64 v[38:39], v[3:4], -v[7:8]
	v_add_f64_e64 v[40:41], v[1:2], -v[5:6]
	v_add_f64_e32 v[32:33], v[13:14], v[5:6]
	v_add_f64_e32 v[34:35], v[20:21], v[7:8]
	ds_load_b128 v[1:4], v44 offset:12960
	ds_load_b128 v[5:8], v44 offset:15120
	;; [unrolled: 1-line block ×4, first 2 shown]
	v_fma_f64 v[16:17], v[22:23], -0.5, v[16:17]
	v_fma_f64 v[18:19], v[36:37], -0.5, v[18:19]
	s_wait_dscnt 0x3
	v_add_f64_e32 v[13:14], v[24:25], v[1:2]
	v_add_f64_e32 v[20:21], v[26:27], v[3:4]
	;; [unrolled: 1-line block ×4, first 2 shown]
	v_add_f64_e64 v[47:48], v[3:4], -v[11:12]
	v_add_f64_e64 v[49:50], v[1:2], -v[9:10]
	v_add_f64_e32 v[0:1], v[13:14], v[9:10]
	v_add_f64_e32 v[2:3], v[20:21], v[11:12]
	s_wait_dscnt 0x1
	v_add_f64_e32 v[13:14], v[60:61], v[5:6]
	v_add_f64_e32 v[20:21], v[62:63], v[7:8]
	ds_load_b128 v[9:12], v44 offset:25920
	ds_load_b128 v[68:71], v44 offset:28080
	v_fma_f64 v[22:23], v[45:46], -0.5, v[26:27]
	v_fma_f64 v[26:27], v[40:41], s[14:15], v[18:19]
	s_wait_dscnt 0x1
	v_add_f64_e32 v[51:52], v[5:6], v[9:10]
	v_add_f64_e32 v[53:54], v[7:8], v[11:12]
	v_add_f64_e64 v[55:56], v[7:8], -v[11:12]
	v_add_f64_e64 v[57:58], v[5:6], -v[9:10]
	v_add_f64_e32 v[4:5], v[13:14], v[9:10]
	v_add_f64_e32 v[6:7], v[20:21], v[11:12]
	ds_load_b128 v[8:11], v44 offset:17280
	ds_load_b128 v[12:15], v44 offset:19440
	v_fma_f64 v[86:87], v[49:50], s[14:15], v[22:23]
	v_fma_f64 v[82:83], v[49:50], s[12:13], v[22:23]
	v_and_b32_e32 v23, 0xffff, v99
	s_wait_dscnt 0x1
	v_add_f64_e32 v[20:21], v[64:65], v[8:9]
	v_add_f64_e32 v[72:73], v[66:67], v[10:11]
	;; [unrolled: 1-line block ×3, first 2 shown]
	v_add_f64_e64 v[90:91], v[8:9], -v[68:69]
	v_add_f64_e32 v[76:77], v[10:11], v[70:71]
	v_add_f64_e64 v[88:89], v[10:11], -v[70:71]
	v_fma_f64 v[36:37], v[51:52], -0.5, v[60:61]
	v_add_f64_e32 v[8:9], v[20:21], v[68:69]
	s_wait_dscnt 0x0
	v_add_f64_e32 v[20:21], v[28:29], v[12:13]
	v_add_f64_e32 v[10:11], v[72:73], v[70:71]
	ds_load_b128 v[68:71], v44 offset:30240
	v_add_f64_e32 v[72:73], v[30:31], v[14:15]
	v_fma_f64 v[45:46], v[74:75], -0.5, v[64:65]
	v_fma_f64 v[51:52], v[76:77], -0.5, v[66:67]
	v_fma_f64 v[76:77], v[55:56], s[12:13], v[36:37]
	s_wait_dscnt 0x0
	v_add_f64_e32 v[78:79], v[12:13], v[68:69]
	v_add_f64_e32 v[80:81], v[14:15], v[70:71]
	v_add_f64_e64 v[94:95], v[12:13], -v[68:69]
	v_add_f64_e64 v[92:93], v[14:15], -v[70:71]
	v_add_f64_e32 v[12:13], v[20:21], v[68:69]
	v_fma_f64 v[20:21], v[42:43], -0.5, v[24:25]
	v_fma_f64 v[42:43], v[53:54], -0.5, v[62:63]
	v_fma_f64 v[24:25], v[38:39], s[12:13], v[16:17]
	v_add_f64_e32 v[14:15], v[72:73], v[70:71]
	v_fma_f64 v[72:73], v[55:56], s[14:15], v[36:37]
	v_fma_f64 v[68:69], v[88:89], s[12:13], v[45:46]
	;; [unrolled: 1-line block ×5, first 2 shown]
	v_add_co_u32 v89, null, 0x195, v59
	v_add_co_ci_u32_e64 v90, null, 0, 0, s16
	v_fma_f64 v[53:54], v[78:79], -0.5, v[28:29]
	v_fma_f64 v[96:97], v[80:81], -0.5, v[30:31]
	v_fma_f64 v[28:29], v[38:39], s[14:15], v[16:17]
	v_fma_f64 v[30:31], v[40:41], s[12:13], v[18:19]
	;; [unrolled: 1-line block ×4, first 2 shown]
	v_mul_lo_u16 v20, v100, 3
	v_fma_f64 v[78:79], v[57:58], s[14:15], v[42:43]
	v_fma_f64 v[74:75], v[57:58], s[12:13], v[42:43]
	s_delay_alu instid0(VALU_DEP_3) | instskip(NEXT) | instid1(VALU_DEP_1)
	v_and_b32_e32 v20, 0xffff, v20
	v_lshlrev_b32_e32 v20, 4, v20
	scratch_store_b32 off, v20, off offset:248 ; 4-byte Folded Spill
	global_wb scope:SCOPE_SE
	s_wait_storecnt 0x0
	s_barrier_signal -1
	s_barrier_wait -1
	global_inv scope:SCOPE_SE
	ds_store_b128 v20, v[32:35]
	ds_store_b128 v20, v[24:27] offset:16
	ds_store_b128 v20, v[28:31] offset:32
	v_mul_u32_u24_e32 v20, 3, v99
	v_fma_f64 v[60:61], v[92:93], s[12:13], v[53:54]
	v_fma_f64 v[62:63], v[94:95], s[14:15], v[96:97]
	;; [unrolled: 1-line block ×4, first 2 shown]
	v_lshlrev_b32_e32 v20, 4, v20
	v_and_b32_e32 v24, 0xff, v100
	scratch_store_b32 off, v20, off offset:524 ; 4-byte Folded Spill
	ds_store_b128 v20, v[0:3]
	ds_store_b128 v20, v[84:87] offset:16
	ds_store_b128 v20, v[80:83] offset:32
	v_add_co_u32 v84, null, 0x10e, v59
	s_delay_alu instid0(VALU_DEP_1) | instskip(NEXT) | instid1(VALU_DEP_1)
	v_mul_u32_u24_e32 v0, 3, v84
	v_lshlrev_b32_e32 v0, 4, v0
	scratch_store_b32 off, v0, off offset:520 ; 4-byte Folded Spill
	ds_store_b128 v0, v[4:7]
	ds_store_b128 v0, v[76:79] offset:16
	ds_store_b128 v0, v[72:75] offset:32
	v_mul_u32_u24_e32 v0, 3, v89
	s_delay_alu instid0(VALU_DEP_1)
	v_lshlrev_b32_e32 v0, 4, v0
	scratch_store_b32 off, v0, off offset:516 ; 4-byte Folded Spill
	ds_store_b128 v0, v[8:11]
	ds_store_b128 v0, v[68:71] offset:16
	ds_store_b128 v0, v[64:67] offset:32
	v_mul_u32_u24_e32 v0, 3, v101
	s_delay_alu instid0(VALU_DEP_1)
	v_lshlrev_b32_e32 v0, 4, v0
	scratch_store_b32 off, v0, off offset:512 ; 4-byte Folded Spill
	ds_store_b128 v0, v[12:15]
	ds_store_b128 v0, v[60:63] offset:16
	ds_store_b128 v0, v[16:19] offset:32
	v_mul_lo_u16 v0, 0xab, v24
	global_wb scope:SCOPE_SE
	s_wait_storecnt_dscnt 0x0
	s_barrier_signal -1
	s_barrier_wait -1
	global_inv scope:SCOPE_SE
	v_lshrrev_b16 v27, 9, v0
	v_and_b32_e32 v61, 0xffff, v101
	s_delay_alu instid0(VALU_DEP_2) | instskip(NEXT) | instid1(VALU_DEP_1)
	v_mul_lo_u16 v0, v27, 3
	v_sub_nc_u16 v0, v100, v0
	s_delay_alu instid0(VALU_DEP_1) | instskip(NEXT) | instid1(VALU_DEP_1)
	v_and_b32_e32 v59, 0xff, v0
	v_lshlrev_b32_e32 v0, 5, v59
	s_clause 0x1
	global_load_b128 v[240:243], v0, s[10:11]
	global_load_b128 v[236:239], v0, s[10:11] offset:16
	ds_load_b128 v[1:4], v44 offset:10800
	ds_load_b128 v[28:31], v44 offset:8640
	s_wait_loadcnt_dscnt 0x101
	v_mul_f64_e32 v[5:6], v[3:4], v[242:243]
	s_delay_alu instid0(VALU_DEP_1) | instskip(SKIP_1) | instid1(VALU_DEP_1)
	v_fma_f64 v[13:14], v[1:2], v[240:241], -v[5:6]
	v_mul_f64_e32 v[0:1], v[1:2], v[242:243]
	v_fma_f64 v[15:16], v[3:4], v[240:241], v[0:1]
	ds_load_b128 v[1:4], v44 offset:21600
	ds_load_b128 v[5:8], v44 offset:23760
	s_wait_loadcnt_dscnt 0x1
	v_mul_f64_e32 v[9:10], v[3:4], v[238:239]
	s_delay_alu instid0(VALU_DEP_1) | instskip(SKIP_1) | instid1(VALU_DEP_2)
	v_fma_f64 v[17:18], v[1:2], v[236:237], -v[9:10]
	v_mul_f64_e32 v[0:1], v[1:2], v[238:239]
	v_add_f64_e32 v[51:52], v[13:14], v[17:18]
	s_delay_alu instid0(VALU_DEP_2) | instskip(SKIP_1) | instid1(VALU_DEP_1)
	v_fma_f64 v[19:20], v[3:4], v[236:237], v[0:1]
	v_mul_u32_u24_e32 v0, 0xaaab, v23
	v_lshrrev_b32_e32 v82, 17, v0
	s_delay_alu instid0(VALU_DEP_1) | instskip(NEXT) | instid1(VALU_DEP_1)
	v_mul_lo_u16 v0, v82, 3
	v_sub_nc_u16 v83, v99, v0
	s_delay_alu instid0(VALU_DEP_1) | instskip(NEXT) | instid1(VALU_DEP_1)
	v_lshlrev_b16 v0, 1, v83
	v_and_b32_e32 v0, 0xffff, v0
	s_delay_alu instid0(VALU_DEP_1)
	v_lshlrev_b32_e32 v0, 4, v0
	s_clause 0x1
	global_load_b128 v[248:251], v0, s[10:11]
	global_load_b128 v[244:247], v0, s[10:11] offset:16
	ds_load_b128 v[1:4], v44 offset:12960
	ds_load_b128 v[9:12], v44 offset:15120
	v_add_f64_e32 v[53:54], v[15:16], v[19:20]
	s_wait_loadcnt_dscnt 0x101
	v_mul_f64_e32 v[21:22], v[3:4], v[250:251]
	s_delay_alu instid0(VALU_DEP_1) | instskip(SKIP_2) | instid1(VALU_DEP_2)
	v_fma_f64 v[25:26], v[1:2], v[248:249], -v[21:22]
	v_mul_f64_e32 v[0:1], v[1:2], v[250:251]
	v_and_b32_e32 v22, 0xffff, v84
	v_fma_f64 v[32:33], v[3:4], v[248:249], v[0:1]
	s_wait_loadcnt 0x0
	v_mul_f64_e32 v[0:1], v[7:8], v[246:247]
	s_delay_alu instid0(VALU_DEP_1) | instskip(SKIP_1) | instid1(VALU_DEP_1)
	v_fma_f64 v[34:35], v[5:6], v[244:245], -v[0:1]
	v_mul_f64_e32 v[0:1], v[5:6], v[246:247]
	v_fma_f64 v[36:37], v[7:8], v[244:245], v[0:1]
	v_mul_u32_u24_e32 v0, 0xaaab, v22
	s_delay_alu instid0(VALU_DEP_1) | instskip(NEXT) | instid1(VALU_DEP_1)
	v_lshrrev_b32_e32 v21, 17, v0
	v_mul_lo_u16 v0, v21, 3
	s_delay_alu instid0(VALU_DEP_1) | instskip(NEXT) | instid1(VALU_DEP_1)
	v_sub_nc_u16 v85, v84, v0
	v_lshlrev_b16 v0, 1, v85
	s_delay_alu instid0(VALU_DEP_1) | instskip(NEXT) | instid1(VALU_DEP_1)
	v_and_b32_e32 v0, 0xffff, v0
	v_lshlrev_b32_e32 v0, 4, v0
	s_clause 0x1
	global_load_b128 v[150:153], v0, s[10:11]
	global_load_b128 v[252:255], v0, s[10:11] offset:16
	s_wait_loadcnt_dscnt 0x100
	v_mul_f64_e32 v[0:1], v[11:12], v[152:153]
	s_delay_alu instid0(VALU_DEP_1) | instskip(SKIP_1) | instid1(VALU_DEP_1)
	v_fma_f64 v[38:39], v[9:10], v[150:151], -v[0:1]
	v_mul_f64_e32 v[0:1], v[9:10], v[152:153]
	v_fma_f64 v[9:10], v[11:12], v[150:151], v[0:1]
	ds_load_b128 v[1:4], v44 offset:25920
	ds_load_b128 v[5:8], v44 offset:28080
	s_wait_loadcnt_dscnt 0x1
	v_mul_f64_e32 v[11:12], v[3:4], v[254:255]
	s_delay_alu instid0(VALU_DEP_1) | instskip(SKIP_1) | instid1(VALU_DEP_1)
	v_fma_f64 v[11:12], v[1:2], v[252:253], -v[11:12]
	v_mul_f64_e32 v[0:1], v[1:2], v[254:255]
	v_fma_f64 v[40:41], v[3:4], v[252:253], v[0:1]
	v_and_b32_e32 v0, 0xffff, v89
	s_delay_alu instid0(VALU_DEP_1) | instskip(NEXT) | instid1(VALU_DEP_1)
	v_mul_u32_u24_e32 v0, 0xaaab, v0
	v_lshrrev_b32_e32 v86, 17, v0
	s_delay_alu instid0(VALU_DEP_1) | instskip(NEXT) | instid1(VALU_DEP_1)
	v_mul_lo_u16 v0, v86, 3
	v_sub_nc_u16 v87, v89, v0
	s_delay_alu instid0(VALU_DEP_1) | instskip(NEXT) | instid1(VALU_DEP_1)
	v_lshlrev_b16 v0, 1, v87
	v_and_b32_e32 v0, 0xffff, v0
	s_delay_alu instid0(VALU_DEP_1)
	v_lshlrev_b32_e32 v0, 4, v0
	s_clause 0x1
	global_load_b128 v[142:145], v0, s[10:11]
	global_load_b128 v[146:149], v0, s[10:11] offset:16
	ds_load_b128 v[1:4], v44 offset:17280
	ds_load_b128 v[62:65], v44 offset:19440
	s_wait_loadcnt_dscnt 0x101
	v_mul_f64_e32 v[42:43], v[3:4], v[144:145]
	s_delay_alu instid0(VALU_DEP_1) | instskip(SKIP_1) | instid1(VALU_DEP_1)
	v_fma_f64 v[42:43], v[1:2], v[142:143], -v[42:43]
	v_mul_f64_e32 v[0:1], v[1:2], v[144:145]
	v_fma_f64 v[0:1], v[3:4], v[142:143], v[0:1]
	s_wait_loadcnt 0x0
	v_mul_f64_e32 v[2:3], v[7:8], v[148:149]
	s_delay_alu instid0(VALU_DEP_1) | instskip(SKIP_2) | instid1(VALU_DEP_1)
	v_fma_f64 v[2:3], v[5:6], v[146:147], -v[2:3]
	v_mul_f64_e32 v[4:5], v[5:6], v[148:149]
	v_mul_u32_u24_e32 v6, 0xaaab, v61
	v_lshrrev_b32_e32 v88, 17, v6
	s_delay_alu instid0(VALU_DEP_1) | instskip(NEXT) | instid1(VALU_DEP_1)
	v_mul_lo_u16 v6, v88, 3
	v_sub_nc_u16 v154, v101, v6
	s_delay_alu instid0(VALU_DEP_1) | instskip(NEXT) | instid1(VALU_DEP_1)
	v_lshlrev_b16 v6, 1, v154
	v_and_b32_e32 v6, 0xffff, v6
	s_delay_alu instid0(VALU_DEP_1)
	v_lshlrev_b32_e32 v6, 4, v6
	s_clause 0x1
	global_load_b128 v[134:137], v6, s[10:11]
	global_load_b128 v[138:141], v6, s[10:11] offset:16
	v_fma_f64 v[4:5], v[7:8], v[146:147], v[4:5]
	s_wait_loadcnt_dscnt 0x100
	v_mul_f64_e32 v[6:7], v[64:65], v[136:137]
	v_mul_f64_e32 v[45:46], v[62:63], v[136:137]
	s_delay_alu instid0(VALU_DEP_2) | instskip(NEXT) | instid1(VALU_DEP_2)
	v_fma_f64 v[6:7], v[62:63], v[134:135], -v[6:7]
	v_fma_f64 v[45:46], v[64:65], v[134:135], v[45:46]
	ds_load_b128 v[62:65], v44 offset:30240
	s_wait_loadcnt_dscnt 0x0
	v_mul_f64_e32 v[47:48], v[64:65], v[140:141]
	v_mul_f64_e32 v[49:50], v[62:63], v[140:141]
	s_delay_alu instid0(VALU_DEP_2) | instskip(NEXT) | instid1(VALU_DEP_2)
	v_fma_f64 v[47:48], v[62:63], v[138:139], -v[47:48]
	v_fma_f64 v[49:50], v[64:65], v[138:139], v[49:50]
	ds_load_b128 v[62:65], v44
	ds_load_b128 v[66:69], v44 offset:2160
	ds_load_b128 v[95:98], v44 offset:4320
	;; [unrolled: 1-line block ×3, first 2 shown]
	s_wait_dscnt 0x3
	v_fma_f64 v[53:54], v[53:54], -0.5, v[64:65]
	v_add_f64_e32 v[57:58], v[62:63], v[13:14]
	v_add_f64_e64 v[13:14], v[13:14], -v[17:18]
	v_fma_f64 v[51:52], v[51:52], -0.5, v[62:63]
	v_add_f64_e32 v[55:56], v[64:65], v[15:16]
	v_add_f64_e64 v[15:16], v[15:16], -v[19:20]
	v_add_f64_e32 v[62:63], v[57:58], v[17:18]
	v_fma_f64 v[72:73], v[13:14], s[14:15], v[53:54]
	v_fma_f64 v[76:77], v[13:14], s[12:13], v[53:54]
	v_add_f64_e32 v[13:14], v[25:26], v[34:35]
	v_fma_f64 v[70:71], v[15:16], s[12:13], v[51:52]
	v_fma_f64 v[74:75], v[15:16], s[14:15], v[51:52]
	v_add_f64_e32 v[15:16], v[32:33], v[36:37]
	s_wait_dscnt 0x2
	v_add_f64_e32 v[17:18], v[68:69], v[32:33]
	v_add_f64_e64 v[32:33], v[32:33], -v[36:37]
	v_add_f64_e32 v[64:65], v[55:56], v[19:20]
	v_add_f64_e32 v[19:20], v[66:67], v[25:26]
	v_fma_f64 v[13:14], v[13:14], -0.5, v[66:67]
	v_fma_f64 v[15:16], v[15:16], -0.5, v[68:69]
	v_add_f64_e32 v[68:69], v[17:18], v[36:37]
	v_add_f64_e64 v[17:18], v[25:26], -v[34:35]
	v_add_f64_e32 v[66:67], v[19:20], v[34:35]
	s_wait_dscnt 0x1
	v_add_f64_e32 v[19:20], v[95:96], v[38:39]
	v_mul_u32_u24_e32 v35, 0xe38f, v22
	v_mul_u32_u24_e32 v22, 0x2d83, v22
	s_delay_alu instid0(VALU_DEP_2) | instskip(NEXT) | instid1(VALU_DEP_1)
	v_lshrrev_b32_e32 v156, 19, v35
	v_mul_lo_u16 v35, v156, 9
	s_delay_alu instid0(VALU_DEP_1) | instskip(NEXT) | instid1(VALU_DEP_1)
	v_sub_nc_u16 v157, v84, v35
	v_lshlrev_b16 v35, 6, v157
	s_delay_alu instid0(VALU_DEP_1)
	v_and_b32_e32 v35, 0xffff, v35
	v_fma_f64 v[78:79], v[32:33], s[12:13], v[13:14]
	v_fma_f64 v[91:92], v[32:33], s[14:15], v[13:14]
	v_add_f64_e32 v[13:14], v[38:39], v[11:12]
	v_fma_f64 v[80:81], v[17:18], s[14:15], v[15:16]
	v_fma_f64 v[93:94], v[17:18], s[12:13], v[15:16]
	v_add_f64_e32 v[15:16], v[9:10], v[40:41]
	v_add_f64_e32 v[17:18], v[97:98], v[9:10]
	v_add_f64_e64 v[8:9], v[9:10], -v[40:41]
	v_fma_f64 v[13:14], v[13:14], -0.5, v[95:96]
	v_add_f64_e32 v[95:96], v[19:20], v[11:12]
	v_add_f64_e64 v[10:11], v[38:39], -v[11:12]
	v_fma_f64 v[15:16], v[15:16], -0.5, v[97:98]
	v_add_f64_e32 v[97:98], v[17:18], v[40:41]
	v_fma_f64 v[106:107], v[8:9], s[12:13], v[13:14]
	v_fma_f64 v[110:111], v[8:9], s[14:15], v[13:14]
	v_add_f64_e32 v[8:9], v[42:43], v[2:3]
	s_wait_dscnt 0x0
	v_add_f64_e32 v[12:13], v[104:105], v[0:1]
	v_fma_f64 v[108:109], v[10:11], s[14:15], v[15:16]
	v_fma_f64 v[112:113], v[10:11], s[12:13], v[15:16]
	v_add_f64_e32 v[10:11], v[0:1], v[4:5]
	v_add_f64_e32 v[14:15], v[102:103], v[42:43]
	v_add_f64_e64 v[0:1], v[0:1], -v[4:5]
	v_mul_u32_u24_e32 v16, 0xe38f, v23
	v_fma_f64 v[8:9], v[8:9], -0.5, v[102:103]
	v_fma_f64 v[10:11], v[10:11], -0.5, v[104:105]
	v_add_f64_e32 v[102:103], v[14:15], v[2:3]
	v_add_f64_e64 v[2:3], v[42:43], -v[2:3]
	v_add_f64_e32 v[104:105], v[12:13], v[4:5]
	v_add_f64_e32 v[4:5], v[30:31], v[45:46]
	v_fma_f64 v[114:115], v[0:1], s[12:13], v[8:9]
	v_fma_f64 v[118:119], v[0:1], s[14:15], v[8:9]
	v_add_f64_e32 v[0:1], v[6:7], v[47:48]
	v_add_f64_e32 v[8:9], v[28:29], v[6:7]
	v_fma_f64 v[116:117], v[2:3], s[14:15], v[10:11]
	v_fma_f64 v[120:121], v[2:3], s[12:13], v[10:11]
	v_add_f64_e32 v[2:3], v[45:46], v[49:50]
	v_add_f64_e64 v[10:11], v[45:46], -v[49:50]
	v_add_f64_e32 v[124:125], v[4:5], v[49:50]
	v_add_f64_e64 v[4:5], v[6:7], -v[47:48]
	v_fma_f64 v[0:1], v[0:1], -0.5, v[28:29]
	v_add_f64_e32 v[122:123], v[8:9], v[47:48]
	v_fma_f64 v[2:3], v[2:3], -0.5, v[30:31]
	s_delay_alu instid0(VALU_DEP_3) | instskip(SKIP_2) | instid1(VALU_DEP_1)
	v_fma_f64 v[126:127], v[10:11], s[12:13], v[0:1]
	v_fma_f64 v[130:131], v[10:11], s[14:15], v[0:1]
	v_and_b32_e32 v0, 0xffff, v27
	v_mul_u32_u24_e32 v0, 9, v0
	v_fma_f64 v[128:129], v[4:5], s[14:15], v[2:3]
	v_fma_f64 v[132:133], v[4:5], s[12:13], v[2:3]
	s_delay_alu instid0(VALU_DEP_3)
	v_add_lshl_u32 v0, v0, v59, 4
	scratch_store_b32 off, v0, off offset:508 ; 4-byte Folded Spill
	global_wb scope:SCOPE_SE
	s_wait_storecnt 0x0
	s_barrier_signal -1
	s_barrier_wait -1
	global_inv scope:SCOPE_SE
	ds_store_b128 v0, v[62:65]
	ds_store_b128 v0, v[70:73] offset:48
	ds_store_b128 v0, v[74:77] offset:96
	v_mad_u16 v0, v82, 9, v83
	s_delay_alu instid0(VALU_DEP_1) | instskip(NEXT) | instid1(VALU_DEP_1)
	v_and_b32_e32 v0, 0xffff, v0
	v_lshlrev_b32_e32 v0, 4, v0
	scratch_store_b32 off, v0, off offset:504 ; 4-byte Folded Spill
	ds_store_b128 v0, v[66:69]
	ds_store_b128 v0, v[78:81] offset:48
	ds_store_b128 v0, v[91:94] offset:96
	v_mad_u16 v0, v21, 9, v85
	s_delay_alu instid0(VALU_DEP_1) | instskip(NEXT) | instid1(VALU_DEP_1)
	v_and_b32_e32 v0, 0xffff, v0
	v_lshlrev_b32_e32 v0, 4, v0
	scratch_store_b32 off, v0, off offset:500 ; 4-byte Folded Spill
	;; [unrolled: 8-line block ×3, first 2 shown]
	ds_store_b128 v0, v[102:105]
	ds_store_b128 v0, v[114:117] offset:48
	ds_store_b128 v0, v[118:121] offset:96
	v_mad_u16 v0, v88, 9, v154
	v_lshrrev_b32_e32 v154, 19, v16
	s_delay_alu instid0(VALU_DEP_2) | instskip(NEXT) | instid1(VALU_DEP_2)
	v_and_b32_e32 v0, 0xffff, v0
	v_mul_lo_u16 v16, v154, 9
	s_delay_alu instid0(VALU_DEP_2) | instskip(NEXT) | instid1(VALU_DEP_2)
	v_lshlrev_b32_e32 v0, 4, v0
	v_sub_nc_u16 v155, v99, v16
	scratch_store_b32 off, v0, off offset:492 ; 4-byte Folded Spill
	ds_store_b128 v0, v[122:125]
	ds_store_b128 v0, v[126:129] offset:48
	ds_store_b128 v0, v[130:133] offset:96
	v_mul_lo_u16 v0, v24, 57
	global_wb scope:SCOPE_SE
	s_wait_storecnt_dscnt 0x0
	s_barrier_signal -1
	s_barrier_wait -1
	global_inv scope:SCOPE_SE
	v_lshrrev_b16 v43, 9, v0
	v_lshlrev_b16 v16, 6, v155
	s_delay_alu instid0(VALU_DEP_2) | instskip(NEXT) | instid1(VALU_DEP_2)
	v_mul_lo_u16 v0, v43, 9
	v_and_b32_e32 v16, 0xffff, v16
	s_delay_alu instid0(VALU_DEP_2) | instskip(NEXT) | instid1(VALU_DEP_2)
	v_sub_nc_u16 v0, v100, v0
	v_add_co_u32 v16, s16, s10, v16
	s_wait_alu 0xf1ff
	v_add_co_ci_u32_e64 v17, null, s11, 0, s16
	s_delay_alu instid0(VALU_DEP_3) | instskip(SKIP_3) | instid1(VALU_DEP_3)
	v_and_b32_e32 v59, 0xff, v0
	v_add_co_u32 v35, s16, s10, v35
	s_wait_alu 0xf1ff
	v_add_co_ci_u32_e64 v36, null, s11, 0, s16
	v_lshlrev_b32_e32 v8, 6, v59
	s_clause 0x1
	global_load_b128 v[196:199], v8, s[10:11] offset:96
	global_load_b128 v[188:191], v8, s[10:11] offset:112
	ds_load_b128 v[62:65], v44 offset:6480
	ds_load_b128 v[66:69], v44 offset:4320
	s_mov_b32 s16, 0x4755a5e
	s_mov_b32 s17, 0x3fe2cf23
	s_wait_alu 0xfffe
	s_mov_b32 s18, s16
	s_wait_loadcnt_dscnt 0x101
	v_mul_f64_e32 v[0:1], v[64:65], v[198:199]
	v_mul_f64_e32 v[2:3], v[62:63], v[198:199]
	s_delay_alu instid0(VALU_DEP_2) | instskip(NEXT) | instid1(VALU_DEP_2)
	v_fma_f64 v[0:1], v[62:63], v[196:197], -v[0:1]
	v_fma_f64 v[2:3], v[64:65], v[196:197], v[2:3]
	ds_load_b128 v[62:65], v44 offset:12960
	ds_load_b128 v[70:73], v44 offset:15120
	s_clause 0x1
	global_load_b128 v[200:203], v8, s[10:11] offset:128
	global_load_b128 v[192:195], v8, s[10:11] offset:144
	s_wait_loadcnt_dscnt 0x201
	v_mul_f64_e32 v[4:5], v[64:65], v[190:191]
	v_mul_f64_e32 v[6:7], v[62:63], v[190:191]
	s_delay_alu instid0(VALU_DEP_2) | instskip(NEXT) | instid1(VALU_DEP_2)
	v_fma_f64 v[4:5], v[62:63], v[188:189], -v[4:5]
	v_fma_f64 v[6:7], v[64:65], v[188:189], v[6:7]
	ds_load_b128 v[62:65], v44 offset:19440
	ds_load_b128 v[74:77], v44 offset:17280
	v_add_f64_e64 v[53:54], v[0:1], -v[4:5]
	s_wait_loadcnt_dscnt 0x101
	v_mul_f64_e32 v[8:9], v[64:65], v[202:203]
	v_mul_f64_e32 v[10:11], v[62:63], v[202:203]
	s_delay_alu instid0(VALU_DEP_2) | instskip(NEXT) | instid1(VALU_DEP_2)
	v_fma_f64 v[8:9], v[62:63], v[200:201], -v[8:9]
	v_fma_f64 v[10:11], v[64:65], v[200:201], v[10:11]
	ds_load_b128 v[62:65], v44 offset:25920
	ds_load_b128 v[78:81], v44 offset:28080
	s_clause 0x1
	global_load_b128 v[212:215], v[16:17], off offset:96
	global_load_b128 v[204:207], v[16:17], off offset:112
	s_wait_loadcnt_dscnt 0x201
	v_mul_f64_e32 v[12:13], v[64:65], v[194:195]
	v_mul_f64_e32 v[14:15], v[62:63], v[194:195]
	v_add_f64_e64 v[85:86], v[6:7], -v[10:11]
	s_delay_alu instid0(VALU_DEP_3) | instskip(NEXT) | instid1(VALU_DEP_3)
	v_fma_f64 v[12:13], v[62:63], v[192:193], -v[12:13]
	v_fma_f64 v[14:15], v[64:65], v[192:193], v[14:15]
	ds_load_b128 v[62:65], v44 offset:8640
	ds_load_b128 v[91:94], v44 offset:10800
	s_clause 0x1
	global_load_b128 v[216:219], v[16:17], off offset:128
	global_load_b128 v[208:211], v[16:17], off offset:144
	v_add_f64_e64 v[55:56], v[12:13], -v[8:9]
	v_add_f64_e64 v[57:58], v[14:15], -v[10:11]
	;; [unrolled: 1-line block ×4, first 2 shown]
	s_delay_alu instid0(VALU_DEP_4) | instskip(SKIP_1) | instid1(VALU_DEP_1)
	v_add_f64_e32 v[53:54], v[53:54], v[55:56]
	v_add_f64_e64 v[55:56], v[2:3], -v[6:7]
	v_add_f64_e32 v[55:56], v[55:56], v[57:58]
	v_add_f64_e32 v[57:58], v[4:5], v[8:9]
	s_wait_loadcnt_dscnt 0x301
	v_mul_f64_e32 v[18:19], v[64:65], v[214:215]
	v_mul_f64_e32 v[20:21], v[62:63], v[214:215]
	s_wait_loadcnt 0x2
	v_mul_f64_e32 v[25:26], v[72:73], v[206:207]
	v_mul_f64_e32 v[27:28], v[70:71], v[206:207]
	s_delay_alu instid0(VALU_DEP_4) | instskip(NEXT) | instid1(VALU_DEP_4)
	v_fma_f64 v[18:19], v[62:63], v[212:213], -v[18:19]
	v_fma_f64 v[20:21], v[64:65], v[212:213], v[20:21]
	s_delay_alu instid0(VALU_DEP_4) | instskip(NEXT) | instid1(VALU_DEP_4)
	v_fma_f64 v[25:26], v[70:71], v[204:205], -v[25:26]
	v_fma_f64 v[27:28], v[72:73], v[204:205], v[27:28]
	ds_load_b128 v[62:65], v44 offset:21600
	ds_load_b128 v[70:73], v44 offset:23760
	s_clause 0x3
	global_load_b128 v[228:231], v[35:36], off offset:96
	global_load_b128 v[220:223], v[35:36], off offset:112
	;; [unrolled: 1-line block ×4, first 2 shown]
	s_wait_loadcnt 0x4
	v_mul_f64_e32 v[31:32], v[80:81], v[210:211]
	s_wait_dscnt 0x1
	v_mul_f64_e32 v[16:17], v[64:65], v[218:219]
	v_mul_f64_e32 v[29:30], v[62:63], v[218:219]
	;; [unrolled: 1-line block ×3, first 2 shown]
	s_delay_alu instid0(VALU_DEP_4) | instskip(NEXT) | instid1(VALU_DEP_4)
	v_fma_f64 v[31:32], v[78:79], v[208:209], -v[31:32]
	v_fma_f64 v[16:17], v[62:63], v[216:217], -v[16:17]
	s_delay_alu instid0(VALU_DEP_4)
	v_fma_f64 v[29:30], v[64:65], v[216:217], v[29:30]
	ds_load_b128 v[62:65], v44 offset:30240
	v_fma_f64 v[33:34], v[80:81], v[208:209], v[33:34]
	s_wait_loadcnt 0x3
	v_mul_f64_e32 v[37:38], v[93:94], v[230:231]
	s_wait_loadcnt_dscnt 0x101
	v_mul_f64_e32 v[35:36], v[72:73], v[234:235]
	v_mul_f64_e32 v[47:48], v[70:71], v[234:235]
	s_wait_loadcnt_dscnt 0x0
	v_mul_f64_e32 v[49:50], v[64:65], v[226:227]
	v_mul_f64_e32 v[51:52], v[62:63], v[226:227]
	;; [unrolled: 1-line block ×5, first 2 shown]
	v_fma_f64 v[37:38], v[91:92], v[228:229], -v[37:38]
	v_fma_f64 v[35:36], v[70:71], v[232:233], -v[35:36]
	v_fma_f64 v[47:48], v[72:73], v[232:233], v[47:48]
	v_fma_f64 v[49:50], v[62:63], v[224:225], -v[49:50]
	v_fma_f64 v[51:52], v[64:65], v[224:225], v[51:52]
	ds_load_b128 v[62:65], v44
	ds_load_b128 v[70:73], v44 offset:2160
	v_fma_f64 v[41:42], v[74:75], v[220:221], -v[41:42]
	v_add_f64_e32 v[74:75], v[6:7], v[10:11]
	v_fma_f64 v[45:46], v[76:77], v[220:221], v[45:46]
	v_add_f64_e64 v[91:92], v[4:5], -v[8:9]
	v_fma_f64 v[39:40], v[93:94], v[228:229], v[39:40]
	s_wait_dscnt 0x1
	v_fma_f64 v[57:58], v[57:58], -0.5, v[62:63]
	v_fma_f64 v[78:79], v[74:75], -0.5, v[64:65]
	s_delay_alu instid0(VALU_DEP_2) | instskip(SKIP_1) | instid1(VALU_DEP_3)
	v_fma_f64 v[74:75], v[82:83], s[20:21], v[57:58]
	v_fma_f64 v[57:58], v[82:83], s[22:23], v[57:58]
	;; [unrolled: 1-line block ×4, first 2 shown]
	s_delay_alu instid0(VALU_DEP_4) | instskip(SKIP_1) | instid1(VALU_DEP_4)
	v_fma_f64 v[74:75], v[85:86], s[16:17], v[74:75]
	s_wait_alu 0xfffe
	v_fma_f64 v[57:58], v[85:86], s[18:19], v[57:58]
	s_delay_alu instid0(VALU_DEP_4) | instskip(NEXT) | instid1(VALU_DEP_4)
	v_fma_f64 v[76:77], v[91:92], s[18:19], v[76:77]
	v_fma_f64 v[80:81], v[91:92], s[16:17], v[78:79]
	s_delay_alu instid0(VALU_DEP_4) | instskip(NEXT) | instid1(VALU_DEP_4)
	v_fma_f64 v[74:75], v[53:54], s[24:25], v[74:75]
	v_fma_f64 v[78:79], v[53:54], s[24:25], v[57:58]
	v_add_f64_e32 v[53:54], v[0:1], v[12:13]
	v_add_f64_e32 v[57:58], v[62:63], v[0:1]
	v_add_f64_e64 v[0:1], v[4:5], -v[0:1]
	v_fma_f64 v[76:77], v[55:56], s[24:25], v[76:77]
	v_fma_f64 v[80:81], v[55:56], s[24:25], v[80:81]
	v_add_f64_e32 v[55:56], v[2:3], v[14:15]
	v_fma_f64 v[53:54], v[53:54], -0.5, v[62:63]
	v_add_f64_e32 v[62:63], v[64:65], v[2:3]
	v_add_f64_e32 v[4:5], v[57:58], v[4:5]
	v_add_f64_e64 v[2:3], v[6:7], -v[2:3]
	v_fma_f64 v[55:56], v[55:56], -0.5, v[64:65]
	s_delay_alu instid0(VALU_DEP_4) | instskip(NEXT) | instid1(VALU_DEP_4)
	v_add_f64_e32 v[57:58], v[62:63], v[6:7]
	v_add_f64_e32 v[4:5], v[4:5], v[8:9]
	v_add_f64_e64 v[8:9], v[8:9], -v[12:13]
	s_delay_alu instid0(VALU_DEP_3) | instskip(NEXT) | instid1(VALU_DEP_3)
	v_add_f64_e32 v[6:7], v[57:58], v[10:11]
	v_add_f64_e32 v[62:63], v[4:5], v[12:13]
	v_add_f64_e64 v[4:5], v[10:11], -v[14:15]
	v_fma_f64 v[10:11], v[85:86], s[20:21], v[53:54]
	v_fma_f64 v[12:13], v[91:92], s[20:21], v[55:56]
	v_add_f64_e32 v[0:1], v[0:1], v[8:9]
	v_add_f64_e32 v[64:65], v[6:7], v[14:15]
	v_fma_f64 v[6:7], v[85:86], s[22:23], v[53:54]
	v_fma_f64 v[14:15], v[91:92], s[22:23], v[55:56]
	v_add_f64_e32 v[2:3], v[2:3], v[4:5]
	v_fma_f64 v[8:9], v[87:88], s[18:19], v[12:13]
	v_add_f64_e64 v[53:54], v[25:26], -v[16:17]
	v_fma_f64 v[4:5], v[82:83], s[16:17], v[6:7]
	v_fma_f64 v[6:7], v[82:83], s[18:19], v[10:11]
	;; [unrolled: 1-line block ×4, first 2 shown]
	v_add_f64_e64 v[8:9], v[20:21], -v[33:34]
	v_add_f64_e64 v[14:15], v[18:19], -v[31:32]
	v_fma_f64 v[91:92], v[0:1], s[24:25], v[4:5]
	v_fma_f64 v[95:96], v[0:1], s[24:25], v[6:7]
	;; [unrolled: 1-line block ×3, first 2 shown]
	v_add_f64_e64 v[0:1], v[18:19], -v[25:26]
	v_add_f64_e64 v[2:3], v[31:32], -v[16:17]
	;; [unrolled: 1-line block ×3, first 2 shown]
	v_add_f64_e32 v[6:7], v[27:28], v[29:30]
	v_add_f64_e64 v[10:11], v[27:28], -v[29:30]
	s_delay_alu instid0(VALU_DEP_4) | instskip(SKIP_2) | instid1(VALU_DEP_4)
	v_add_f64_e32 v[0:1], v[0:1], v[2:3]
	v_add_f64_e64 v[2:3], v[20:21], -v[27:28]
	s_wait_dscnt 0x0
	v_fma_f64 v[6:7], v[6:7], -0.5, v[72:73]
	s_delay_alu instid0(VALU_DEP_2) | instskip(SKIP_1) | instid1(VALU_DEP_3)
	v_add_f64_e32 v[2:3], v[2:3], v[4:5]
	v_add_f64_e32 v[4:5], v[25:26], v[16:17]
	v_fma_f64 v[55:56], v[14:15], s[22:23], v[6:7]
	v_fma_f64 v[6:7], v[14:15], s[20:21], v[6:7]
	s_delay_alu instid0(VALU_DEP_3) | instskip(NEXT) | instid1(VALU_DEP_3)
	v_fma_f64 v[4:5], v[4:5], -0.5, v[70:71]
	v_fma_f64 v[55:56], v[53:54], s[18:19], v[55:56]
	s_delay_alu instid0(VALU_DEP_3) | instskip(NEXT) | instid1(VALU_DEP_3)
	v_fma_f64 v[6:7], v[53:54], s[16:17], v[6:7]
	v_fma_f64 v[12:13], v[8:9], s[20:21], v[4:5]
	;; [unrolled: 1-line block ×3, first 2 shown]
	s_delay_alu instid0(VALU_DEP_3)
	v_fma_f64 v[108:109], v[2:3], s[24:25], v[6:7]
	v_add_f64_e32 v[6:7], v[72:73], v[20:21]
	v_fma_f64 v[104:105], v[2:3], s[24:25], v[55:56]
	v_add_f64_e32 v[2:3], v[20:21], v[33:34]
	v_fma_f64 v[12:13], v[10:11], s[16:17], v[12:13]
	v_fma_f64 v[4:5], v[10:11], s[18:19], v[4:5]
	v_add_f64_e32 v[6:7], v[6:7], v[27:28]
	s_delay_alu instid0(VALU_DEP_4) | instskip(NEXT) | instid1(VALU_DEP_4)
	v_fma_f64 v[2:3], v[2:3], -0.5, v[72:73]
	v_fma_f64 v[102:103], v[0:1], s[24:25], v[12:13]
	s_delay_alu instid0(VALU_DEP_4)
	v_fma_f64 v[106:107], v[0:1], s[24:25], v[4:5]
	v_add_f64_e32 v[4:5], v[70:71], v[18:19]
	v_add_f64_e32 v[0:1], v[18:19], v[31:32]
	;; [unrolled: 1-line block ×3, first 2 shown]
	v_add_f64_e64 v[12:13], v[25:26], -v[18:19]
	v_add_f64_e64 v[18:19], v[27:28], -v[20:21]
	;; [unrolled: 1-line block ×3, first 2 shown]
	v_add_f64_e32 v[4:5], v[4:5], v[25:26]
	v_fma_f64 v[0:1], v[0:1], -0.5, v[70:71]
	v_add_f64_e32 v[72:73], v[6:7], v[33:34]
	s_delay_alu instid0(VALU_DEP_3) | instskip(SKIP_1) | instid1(VALU_DEP_4)
	v_add_f64_e32 v[4:5], v[4:5], v[16:17]
	v_add_f64_e64 v[16:17], v[16:17], -v[31:32]
	v_fma_f64 v[6:7], v[10:11], s[22:23], v[0:1]
	v_fma_f64 v[0:1], v[10:11], s[20:21], v[0:1]
	;; [unrolled: 1-line block ×4, first 2 shown]
	v_add_f64_e32 v[70:71], v[4:5], v[31:32]
	v_add_f64_e64 v[4:5], v[29:30], -v[33:34]
	v_add_f64_e32 v[12:13], v[12:13], v[16:17]
	v_fma_f64 v[0:1], v[8:9], s[18:19], v[0:1]
	v_fma_f64 v[6:7], v[8:9], s[16:17], v[6:7]
	;; [unrolled: 1-line block ×4, first 2 shown]
	v_add_f64_e64 v[14:15], v[41:42], -v[35:36]
	v_add_f64_e64 v[16:17], v[37:38], -v[49:50]
	;; [unrolled: 1-line block ×3, first 2 shown]
	v_add_f64_e32 v[4:5], v[18:19], v[4:5]
	v_fma_f64 v[114:115], v[12:13], s[24:25], v[0:1]
	v_add_f64_e64 v[0:1], v[41:42], -v[37:38]
	v_fma_f64 v[110:111], v[12:13], s[24:25], v[6:7]
	v_add_f64_e32 v[6:7], v[39:40], v[51:52]
	v_fma_f64 v[116:117], v[4:5], s[24:25], v[2:3]
	v_add_f64_e64 v[2:3], v[35:36], -v[49:50]
	v_fma_f64 v[112:113], v[4:5], s[24:25], v[8:9]
	v_add_f64_e64 v[4:5], v[47:48], -v[51:52]
	v_add_f64_e64 v[8:9], v[45:46], -v[47:48]
	v_fma_f64 v[6:7], v[6:7], -0.5, v[68:69]
	v_add_f64_e32 v[0:1], v[0:1], v[2:3]
	v_add_f64_e64 v[2:3], v[45:46], -v[39:40]
	s_delay_alu instid0(VALU_DEP_3) | instskip(SKIP_1) | instid1(VALU_DEP_3)
	v_fma_f64 v[18:19], v[14:15], s[20:21], v[6:7]
	v_fma_f64 v[6:7], v[14:15], s[22:23], v[6:7]
	v_add_f64_e32 v[2:3], v[2:3], v[4:5]
	v_add_f64_e32 v[4:5], v[37:38], v[49:50]
	s_delay_alu instid0(VALU_DEP_4) | instskip(NEXT) | instid1(VALU_DEP_4)
	v_fma_f64 v[18:19], v[16:17], s[18:19], v[18:19]
	v_fma_f64 v[6:7], v[16:17], s[16:17], v[6:7]
	s_delay_alu instid0(VALU_DEP_3) | instskip(NEXT) | instid1(VALU_DEP_3)
	v_fma_f64 v[4:5], v[4:5], -0.5, v[66:67]
	v_fma_f64 v[120:121], v[2:3], s[24:25], v[18:19]
	s_delay_alu instid0(VALU_DEP_3)
	v_fma_f64 v[124:125], v[2:3], s[24:25], v[6:7]
	v_add_f64_e32 v[6:7], v[66:67], v[37:38]
	v_add_f64_e32 v[2:3], v[45:46], v[47:48]
	v_add_f64_e64 v[18:19], v[37:38], -v[41:42]
	v_fma_f64 v[12:13], v[8:9], s[22:23], v[4:5]
	v_fma_f64 v[4:5], v[8:9], s[20:21], v[4:5]
	v_add_f64_e32 v[6:7], v[6:7], v[41:42]
	v_fma_f64 v[2:3], v[2:3], -0.5, v[68:69]
	s_delay_alu instid0(VALU_DEP_4) | instskip(NEXT) | instid1(VALU_DEP_4)
	v_fma_f64 v[12:13], v[10:11], s[16:17], v[12:13]
	v_fma_f64 v[4:5], v[10:11], s[18:19], v[4:5]
	s_delay_alu instid0(VALU_DEP_4) | instskip(NEXT) | instid1(VALU_DEP_3)
	v_add_f64_e32 v[6:7], v[6:7], v[35:36]
	v_fma_f64 v[118:119], v[0:1], s[24:25], v[12:13]
	s_delay_alu instid0(VALU_DEP_3) | instskip(SKIP_3) | instid1(VALU_DEP_3)
	v_fma_f64 v[122:123], v[0:1], s[24:25], v[4:5]
	v_add_f64_e32 v[4:5], v[68:69], v[39:40]
	v_add_f64_e32 v[0:1], v[41:42], v[35:36]
	v_add_f64_e64 v[12:13], v[39:40], -v[45:46]
	v_add_f64_e32 v[4:5], v[4:5], v[45:46]
	s_delay_alu instid0(VALU_DEP_3) | instskip(SKIP_1) | instid1(VALU_DEP_3)
	v_fma_f64 v[0:1], v[0:1], -0.5, v[66:67]
	v_add_f64_e32 v[66:67], v[6:7], v[49:50]
	v_add_f64_e32 v[4:5], v[4:5], v[47:48]
	s_delay_alu instid0(VALU_DEP_3)
	v_fma_f64 v[6:7], v[10:11], s[20:21], v[0:1]
	v_fma_f64 v[0:1], v[10:11], s[22:23], v[0:1]
	;; [unrolled: 1-line block ×4, first 2 shown]
	v_add_f64_e32 v[16:17], v[18:19], v[20:21]
	v_add_f64_e32 v[68:69], v[4:5], v[51:52]
	v_add_f64_e64 v[4:5], v[51:52], -v[47:48]
	v_fma_f64 v[0:1], v[8:9], s[18:19], v[0:1]
	v_fma_f64 v[6:7], v[8:9], s[16:17], v[6:7]
	;; [unrolled: 1-line block ×4, first 2 shown]
	v_add_f64_e32 v[4:5], v[12:13], v[4:5]
	v_fma_f64 v[130:131], v[16:17], s[24:25], v[0:1]
	v_and_b32_e32 v0, 0xffff, v43
	v_fma_f64 v[126:127], v[16:17], s[24:25], v[6:7]
	v_lshrrev_b32_e32 v43, 19, v22
	s_delay_alu instid0(VALU_DEP_3) | instskip(NEXT) | instid1(VALU_DEP_2)
	v_mul_u32_u24_e32 v0, 45, v0
	v_mul_lo_u16 v33, v43, 45
	s_delay_alu instid0(VALU_DEP_2) | instskip(NEXT) | instid1(VALU_DEP_2)
	v_add_lshl_u32 v0, v0, v59, 4
	v_sub_nc_u16 v22, v84, v33
	scratch_store_b32 off, v0, off offset:488 ; 4-byte Folded Spill
	global_wb scope:SCOPE_SE
	s_wait_storecnt 0x0
	s_barrier_signal -1
	s_barrier_wait -1
	global_inv scope:SCOPE_SE
	ds_store_b128 v0, v[62:65]
	ds_store_b128 v0, v[74:77] offset:144
	ds_store_b128 v0, v[91:94] offset:288
	;; [unrolled: 1-line block ×4, first 2 shown]
	v_mad_u16 v0, v154, 45, v155
	v_lshlrev_b16 v33, 6, v22
	s_delay_alu instid0(VALU_DEP_2) | instskip(NEXT) | instid1(VALU_DEP_2)
	v_and_b32_e32 v0, 0xffff, v0
	v_and_b32_e32 v33, 0xffff, v33
	s_delay_alu instid0(VALU_DEP_2)
	v_lshlrev_b32_e32 v0, 4, v0
	v_fma_f64 v[128:129], v[4:5], s[24:25], v[8:9]
	v_fma_f64 v[132:133], v[4:5], s[24:25], v[2:3]
	scratch_store_b32 off, v0, off offset:484 ; 4-byte Folded Spill
	ds_store_b128 v0, v[70:73]
	ds_store_b128 v0, v[102:105] offset:144
	ds_store_b128 v0, v[110:113] offset:288
	;; [unrolled: 1-line block ×4, first 2 shown]
	v_mad_u16 v0, v156, 45, v157
	s_delay_alu instid0(VALU_DEP_1) | instskip(NEXT) | instid1(VALU_DEP_1)
	v_and_b32_e32 v0, 0xffff, v0
	v_lshlrev_b32_e32 v0, 4, v0
	scratch_store_b32 off, v0, off offset:480 ; 4-byte Folded Spill
	ds_store_b128 v0, v[66:69]
	ds_store_b128 v0, v[126:129] offset:144
	ds_store_b128 v0, v[118:121] offset:288
	;; [unrolled: 1-line block ×4, first 2 shown]
	v_mul_lo_u16 v0, 0x6d, v24
	global_wb scope:SCOPE_SE
	s_wait_storecnt_dscnt 0x0
	s_barrier_signal -1
	s_barrier_wait -1
	global_inv scope:SCOPE_SE
	v_lshrrev_b16 v0, 8, v0
	s_delay_alu instid0(VALU_DEP_1) | instskip(NEXT) | instid1(VALU_DEP_1)
	v_sub_nc_u16 v1, v100, v0
	v_lshrrev_b16 v1, 1, v1
	s_delay_alu instid0(VALU_DEP_1) | instskip(NEXT) | instid1(VALU_DEP_1)
	v_and_b32_e32 v1, 0x7f, v1
	v_add_nc_u16 v0, v1, v0
	s_delay_alu instid0(VALU_DEP_1) | instskip(NEXT) | instid1(VALU_DEP_1)
	v_lshrrev_b16 v60, 5, v0
	v_mul_lo_u16 v0, v60, 45
	s_delay_alu instid0(VALU_DEP_1) | instskip(NEXT) | instid1(VALU_DEP_1)
	v_sub_nc_u16 v0, v100, v0
	v_and_b32_e32 v59, 0xff, v0
	s_delay_alu instid0(VALU_DEP_1)
	v_lshlrev_b32_e32 v8, 6, v59
	s_clause 0x1
	global_load_b128 v[9:12], v8, s[10:11] offset:672
	global_load_b128 v[4:7], v8, s[10:11] offset:688
	s_wait_loadcnt 0x1
	scratch_store_b128 off, v[9:12], off offset:428 ; 16-byte Folded Spill
	ds_load_b128 v[62:65], v44 offset:6480
	ds_load_b128 v[66:69], v44 offset:4320
	s_wait_dscnt 0x1
	v_mul_f64_e32 v[0:1], v[64:65], v[11:12]
	v_mul_f64_e32 v[2:3], v[62:63], v[11:12]
	s_delay_alu instid0(VALU_DEP_2) | instskip(NEXT) | instid1(VALU_DEP_2)
	v_fma_f64 v[0:1], v[62:63], v[9:10], -v[0:1]
	v_fma_f64 v[2:3], v[64:65], v[9:10], v[2:3]
	ds_load_b128 v[62:65], v44 offset:12960
	ds_load_b128 v[70:73], v44 offset:15120
	global_load_b128 v[16:19], v8, s[10:11] offset:704
	s_wait_loadcnt 0x1
	v_dual_mov_b32 v12, v7 :: v_dual_mov_b32 v11, v6
	v_dual_mov_b32 v10, v5 :: v_dual_mov_b32 v9, v4
	scratch_store_b128 off, v[9:12], off offset:412 ; 16-byte Folded Spill
	s_wait_dscnt 0x1
	v_mul_f64_e32 v[4:5], v[64:65], v[11:12]
	v_mul_f64_e32 v[6:7], v[62:63], v[11:12]
	global_load_b128 v[12:15], v8, s[10:11] offset:720
	v_fma_f64 v[4:5], v[62:63], v[9:10], -v[4:5]
	v_fma_f64 v[6:7], v[64:65], v[9:10], v[6:7]
	s_delay_alu instid0(VALU_DEP_2)
	v_add_f64_e64 v[51:52], v[0:1], -v[4:5]
	s_wait_loadcnt 0x1
	scratch_store_b128 off, v[16:19], off offset:460 ; 16-byte Folded Spill
	ds_load_b128 v[62:65], v44 offset:19440
	ds_load_b128 v[74:77], v44 offset:17280
	s_wait_dscnt 0x1
	v_mul_f64_e32 v[8:9], v[64:65], v[18:19]
	v_mul_f64_e32 v[10:11], v[62:63], v[18:19]
	s_delay_alu instid0(VALU_DEP_2) | instskip(NEXT) | instid1(VALU_DEP_2)
	v_fma_f64 v[8:9], v[62:63], v[16:17], -v[8:9]
	v_fma_f64 v[10:11], v[64:65], v[16:17], v[10:11]
	ds_load_b128 v[62:65], v44 offset:25920
	ds_load_b128 v[78:81], v44 offset:28080
	s_wait_loadcnt 0x0
	v_dual_mov_b32 v19, v15 :: v_dual_mov_b32 v18, v14
	v_dual_mov_b32 v17, v13 :: v_dual_mov_b32 v16, v12
	scratch_store_b128 off, v[16:19], off offset:444 ; 16-byte Folded Spill
	s_wait_dscnt 0x1
	v_mul_f64_e32 v[12:13], v[64:65], v[18:19]
	v_mul_f64_e32 v[14:15], v[62:63], v[18:19]
	v_add_f64_e32 v[57:58], v[6:7], v[10:11]
	v_add_f64_e64 v[85:86], v[6:7], -v[10:11]
	s_delay_alu instid0(VALU_DEP_4) | instskip(NEXT) | instid1(VALU_DEP_4)
	v_fma_f64 v[12:13], v[62:63], v[16:17], -v[12:13]
	v_fma_f64 v[14:15], v[64:65], v[16:17], v[14:15]
	v_mul_u32_u24_e32 v16, 0x2d83, v23
	s_delay_alu instid0(VALU_DEP_1) | instskip(NEXT) | instid1(VALU_DEP_1)
	v_lshrrev_b32_e32 v154, 19, v16
	v_mul_lo_u16 v16, v154, 45
	s_delay_alu instid0(VALU_DEP_1) | instskip(NEXT) | instid1(VALU_DEP_1)
	v_sub_nc_u16 v155, v99, v16
	v_lshlrev_b16 v16, 6, v155
	s_delay_alu instid0(VALU_DEP_1) | instskip(NEXT) | instid1(VALU_DEP_1)
	v_and_b32_e32 v16, 0xffff, v16
	v_add_co_u32 v16, s26, s10, v16
	s_delay_alu instid0(VALU_DEP_1)
	v_add_co_ci_u32_e64 v17, null, s11, 0, s26
	s_clause 0x1
	global_load_b128 v[164:167], v[16:17], off offset:672
	global_load_b128 v[156:159], v[16:17], off offset:688
	ds_load_b128 v[62:65], v44 offset:8640
	ds_load_b128 v[91:94], v44 offset:10800
	s_clause 0x1
	global_load_b128 v[168:171], v[16:17], off offset:704
	global_load_b128 v[160:163], v[16:17], off offset:720
	v_add_co_u32 v33, s26, s10, v33
	s_wait_alu 0xf1ff
	v_add_co_ci_u32_e64 v34, null, s11, 0, s26
	v_add_f64_e64 v[53:54], v[12:13], -v[8:9]
	v_add_f64_e64 v[55:56], v[14:15], -v[10:11]
	;; [unrolled: 1-line block ×4, first 2 shown]
	s_delay_alu instid0(VALU_DEP_4) | instskip(SKIP_1) | instid1(VALU_DEP_1)
	v_add_f64_e32 v[51:52], v[51:52], v[53:54]
	v_add_f64_e64 v[53:54], v[2:3], -v[6:7]
	v_add_f64_e32 v[53:54], v[53:54], v[55:56]
	v_add_f64_e32 v[55:56], v[4:5], v[8:9]
	s_wait_loadcnt_dscnt 0x301
	v_mul_f64_e32 v[18:19], v[64:65], v[166:167]
	v_mul_f64_e32 v[20:21], v[62:63], v[166:167]
	s_wait_loadcnt 0x2
	v_mul_f64_e32 v[23:24], v[72:73], v[158:159]
	v_mul_f64_e32 v[25:26], v[70:71], v[158:159]
	s_wait_loadcnt 0x0
	v_mul_f64_e32 v[29:30], v[80:81], v[162:163]
	v_mul_f64_e32 v[31:32], v[78:79], v[162:163]
	v_fma_f64 v[18:19], v[62:63], v[164:165], -v[18:19]
	v_fma_f64 v[20:21], v[64:65], v[164:165], v[20:21]
	v_fma_f64 v[23:24], v[70:71], v[156:157], -v[23:24]
	v_fma_f64 v[25:26], v[72:73], v[156:157], v[25:26]
	ds_load_b128 v[62:65], v44 offset:21600
	ds_load_b128 v[70:73], v44 offset:23760
	s_clause 0x3
	global_load_b128 v[180:183], v[33:34], off offset:672
	global_load_b128 v[172:175], v[33:34], off offset:688
	global_load_b128 v[184:187], v[33:34], off offset:704
	global_load_b128 v[176:179], v[33:34], off offset:720
	v_fma_f64 v[29:30], v[78:79], v[160:161], -v[29:30]
	v_fma_f64 v[31:32], v[80:81], v[160:161], v[31:32]
	s_wait_dscnt 0x1
	v_mul_f64_e32 v[16:17], v[64:65], v[170:171]
	v_mul_f64_e32 v[27:28], v[62:63], v[170:171]
	s_delay_alu instid0(VALU_DEP_2) | instskip(NEXT) | instid1(VALU_DEP_2)
	v_fma_f64 v[16:17], v[62:63], v[168:169], -v[16:17]
	v_fma_f64 v[27:28], v[64:65], v[168:169], v[27:28]
	ds_load_b128 v[62:65], v44 offset:30240
	s_wait_loadcnt 0x3
	v_mul_f64_e32 v[35:36], v[93:94], v[182:183]
	s_wait_loadcnt_dscnt 0x101
	v_mul_f64_e32 v[33:34], v[72:73], v[186:187]
	v_mul_f64_e32 v[45:46], v[70:71], v[186:187]
	s_wait_loadcnt_dscnt 0x0
	v_mul_f64_e32 v[47:48], v[64:65], v[178:179]
	v_mul_f64_e32 v[49:50], v[62:63], v[178:179]
	;; [unrolled: 1-line block ×5, first 2 shown]
	v_fma_f64 v[35:36], v[91:92], v[180:181], -v[35:36]
	v_fma_f64 v[33:34], v[70:71], v[184:185], -v[33:34]
	v_fma_f64 v[45:46], v[72:73], v[184:185], v[45:46]
	v_fma_f64 v[47:48], v[62:63], v[176:177], -v[47:48]
	v_fma_f64 v[49:50], v[64:65], v[176:177], v[49:50]
	ds_load_b128 v[62:65], v44
	ds_load_b128 v[70:73], v44 offset:2160
	v_fma_f64 v[39:40], v[74:75], v[172:173], -v[39:40]
	v_fma_f64 v[41:42], v[76:77], v[172:173], v[41:42]
	v_add_f64_e64 v[91:92], v[4:5], -v[8:9]
	v_fma_f64 v[37:38], v[93:94], v[180:181], v[37:38]
	s_wait_dscnt 0x1
	v_fma_f64 v[55:56], v[55:56], -0.5, v[62:63]
	v_fma_f64 v[57:58], v[57:58], -0.5, v[64:65]
	s_delay_alu instid0(VALU_DEP_2) | instskip(NEXT) | instid1(VALU_DEP_2)
	v_fma_f64 v[74:75], v[82:83], s[20:21], v[55:56]
	v_fma_f64 v[76:77], v[87:88], s[22:23], v[57:58]
	;; [unrolled: 1-line block ×4, first 2 shown]
	s_delay_alu instid0(VALU_DEP_4) | instskip(NEXT) | instid1(VALU_DEP_4)
	v_fma_f64 v[74:75], v[85:86], s[16:17], v[74:75]
	v_fma_f64 v[76:77], v[91:92], s[18:19], v[76:77]
	s_delay_alu instid0(VALU_DEP_4) | instskip(NEXT) | instid1(VALU_DEP_4)
	v_fma_f64 v[55:56], v[85:86], s[18:19], v[55:56]
	v_fma_f64 v[57:58], v[91:92], s[16:17], v[57:58]
	;; [unrolled: 3-line block ×4, first 2 shown]
	v_add_f64_e32 v[55:56], v[62:63], v[0:1]
	v_add_f64_e32 v[57:58], v[64:65], v[2:3]
	;; [unrolled: 1-line block ×4, first 2 shown]
	v_add_f64_e64 v[0:1], v[4:5], -v[0:1]
	v_add_f64_e64 v[2:3], v[6:7], -v[2:3]
	v_add_f64_e32 v[4:5], v[55:56], v[4:5]
	v_add_f64_e32 v[55:56], v[57:58], v[6:7]
	v_fma_f64 v[51:52], v[51:52], -0.5, v[62:63]
	v_fma_f64 v[53:54], v[53:54], -0.5, v[64:65]
	s_delay_alu instid0(VALU_DEP_4) | instskip(NEXT) | instid1(VALU_DEP_4)
	v_add_f64_e32 v[4:5], v[4:5], v[8:9]
	v_add_f64_e32 v[6:7], v[55:56], v[10:11]
	v_add_f64_e64 v[8:9], v[8:9], -v[12:13]
	s_delay_alu instid0(VALU_DEP_3) | instskip(NEXT) | instid1(VALU_DEP_3)
	v_add_f64_e32 v[62:63], v[4:5], v[12:13]
	v_add_f64_e32 v[64:65], v[6:7], v[14:15]
	v_add_f64_e64 v[4:5], v[10:11], -v[14:15]
	v_fma_f64 v[6:7], v[85:86], s[22:23], v[51:52]
	v_fma_f64 v[10:11], v[85:86], s[20:21], v[51:52]
	;; [unrolled: 1-line block ×4, first 2 shown]
	v_add_f64_e32 v[0:1], v[0:1], v[8:9]
	v_add_f64_e64 v[51:52], v[23:24], -v[16:17]
	v_add_f64_e32 v[2:3], v[2:3], v[4:5]
	v_fma_f64 v[4:5], v[82:83], s[16:17], v[6:7]
	v_fma_f64 v[6:7], v[82:83], s[18:19], v[10:11]
	;; [unrolled: 1-line block ×4, first 2 shown]
	v_add_f64_e64 v[14:15], v[18:19], -v[29:30]
	v_fma_f64 v[91:92], v[0:1], s[24:25], v[4:5]
	v_fma_f64 v[95:96], v[0:1], s[24:25], v[6:7]
	;; [unrolled: 1-line block ×4, first 2 shown]
	v_add_f64_e64 v[0:1], v[18:19], -v[23:24]
	v_add_f64_e64 v[2:3], v[29:30], -v[16:17]
	;; [unrolled: 1-line block ×3, first 2 shown]
	v_add_f64_e32 v[6:7], v[25:26], v[27:28]
	v_add_f64_e64 v[8:9], v[20:21], -v[31:32]
	v_add_f64_e64 v[10:11], v[25:26], -v[27:28]
	v_add_f64_e32 v[0:1], v[0:1], v[2:3]
	v_add_f64_e64 v[2:3], v[20:21], -v[25:26]
	s_wait_dscnt 0x0
	v_fma_f64 v[6:7], v[6:7], -0.5, v[72:73]
	s_delay_alu instid0(VALU_DEP_2) | instskip(SKIP_1) | instid1(VALU_DEP_3)
	v_add_f64_e32 v[2:3], v[2:3], v[4:5]
	v_add_f64_e32 v[4:5], v[23:24], v[16:17]
	v_fma_f64 v[53:54], v[14:15], s[22:23], v[6:7]
	v_fma_f64 v[6:7], v[14:15], s[20:21], v[6:7]
	s_delay_alu instid0(VALU_DEP_3) | instskip(NEXT) | instid1(VALU_DEP_3)
	v_fma_f64 v[4:5], v[4:5], -0.5, v[70:71]
	v_fma_f64 v[53:54], v[51:52], s[18:19], v[53:54]
	s_delay_alu instid0(VALU_DEP_3) | instskip(NEXT) | instid1(VALU_DEP_3)
	v_fma_f64 v[6:7], v[51:52], s[16:17], v[6:7]
	v_fma_f64 v[12:13], v[8:9], s[20:21], v[4:5]
	;; [unrolled: 1-line block ×3, first 2 shown]
	s_delay_alu instid0(VALU_DEP_3)
	v_fma_f64 v[108:109], v[2:3], s[24:25], v[6:7]
	v_add_f64_e32 v[6:7], v[72:73], v[20:21]
	v_fma_f64 v[104:105], v[2:3], s[24:25], v[53:54]
	v_add_f64_e32 v[2:3], v[20:21], v[31:32]
	v_fma_f64 v[12:13], v[10:11], s[16:17], v[12:13]
	v_fma_f64 v[4:5], v[10:11], s[18:19], v[4:5]
	v_add_f64_e32 v[6:7], v[6:7], v[25:26]
	s_delay_alu instid0(VALU_DEP_4) | instskip(NEXT) | instid1(VALU_DEP_4)
	v_fma_f64 v[2:3], v[2:3], -0.5, v[72:73]
	v_fma_f64 v[102:103], v[0:1], s[24:25], v[12:13]
	s_delay_alu instid0(VALU_DEP_4)
	v_fma_f64 v[106:107], v[0:1], s[24:25], v[4:5]
	v_add_f64_e32 v[4:5], v[70:71], v[18:19]
	v_add_f64_e32 v[0:1], v[18:19], v[29:30]
	;; [unrolled: 1-line block ×3, first 2 shown]
	v_add_f64_e64 v[12:13], v[23:24], -v[18:19]
	v_add_f64_e64 v[18:19], v[25:26], -v[20:21]
	;; [unrolled: 1-line block ×3, first 2 shown]
	v_add_f64_e32 v[4:5], v[4:5], v[23:24]
	v_fma_f64 v[0:1], v[0:1], -0.5, v[70:71]
	v_add_f64_e32 v[72:73], v[6:7], v[31:32]
	s_delay_alu instid0(VALU_DEP_3) | instskip(SKIP_1) | instid1(VALU_DEP_4)
	v_add_f64_e32 v[4:5], v[4:5], v[16:17]
	v_add_f64_e64 v[16:17], v[16:17], -v[29:30]
	v_fma_f64 v[6:7], v[10:11], s[22:23], v[0:1]
	v_fma_f64 v[0:1], v[10:11], s[20:21], v[0:1]
	;; [unrolled: 1-line block ×4, first 2 shown]
	v_add_f64_e32 v[70:71], v[4:5], v[29:30]
	v_add_f64_e64 v[4:5], v[27:28], -v[31:32]
	v_add_f64_e32 v[12:13], v[12:13], v[16:17]
	v_fma_f64 v[0:1], v[8:9], s[18:19], v[0:1]
	v_fma_f64 v[6:7], v[8:9], s[16:17], v[6:7]
	;; [unrolled: 1-line block ×4, first 2 shown]
	v_add_f64_e64 v[14:15], v[35:36], -v[47:48]
	v_add_f64_e64 v[16:17], v[39:40], -v[33:34]
	;; [unrolled: 1-line block ×3, first 2 shown]
	v_add_f64_e32 v[4:5], v[18:19], v[4:5]
	v_fma_f64 v[114:115], v[12:13], s[24:25], v[0:1]
	v_add_f64_e64 v[0:1], v[35:36], -v[39:40]
	v_fma_f64 v[110:111], v[12:13], s[24:25], v[6:7]
	v_add_f64_e32 v[6:7], v[41:42], v[45:46]
	v_fma_f64 v[116:117], v[4:5], s[24:25], v[2:3]
	v_add_f64_e64 v[2:3], v[47:48], -v[33:34]
	v_fma_f64 v[112:113], v[4:5], s[24:25], v[8:9]
	v_add_f64_e64 v[4:5], v[49:50], -v[45:46]
	v_add_f64_e64 v[8:9], v[37:38], -v[49:50]
	v_fma_f64 v[6:7], v[6:7], -0.5, v[68:69]
	v_add_f64_e32 v[0:1], v[0:1], v[2:3]
	v_add_f64_e64 v[2:3], v[37:38], -v[41:42]
	s_delay_alu instid0(VALU_DEP_3) | instskip(SKIP_1) | instid1(VALU_DEP_3)
	v_fma_f64 v[18:19], v[14:15], s[22:23], v[6:7]
	v_fma_f64 v[6:7], v[14:15], s[20:21], v[6:7]
	v_add_f64_e32 v[2:3], v[2:3], v[4:5]
	v_add_f64_e32 v[4:5], v[39:40], v[33:34]
	s_delay_alu instid0(VALU_DEP_4) | instskip(NEXT) | instid1(VALU_DEP_4)
	v_fma_f64 v[18:19], v[16:17], s[18:19], v[18:19]
	v_fma_f64 v[6:7], v[16:17], s[16:17], v[6:7]
	s_delay_alu instid0(VALU_DEP_3) | instskip(NEXT) | instid1(VALU_DEP_3)
	v_fma_f64 v[4:5], v[4:5], -0.5, v[66:67]
	v_fma_f64 v[120:121], v[2:3], s[24:25], v[18:19]
	s_delay_alu instid0(VALU_DEP_3)
	v_fma_f64 v[124:125], v[2:3], s[24:25], v[6:7]
	v_add_f64_e32 v[6:7], v[68:69], v[37:38]
	v_add_f64_e32 v[2:3], v[37:38], v[49:50]
	v_add_f64_e64 v[18:19], v[41:42], -v[37:38]
	v_fma_f64 v[12:13], v[8:9], s[20:21], v[4:5]
	v_fma_f64 v[4:5], v[8:9], s[22:23], v[4:5]
	v_add_f64_e32 v[6:7], v[6:7], v[41:42]
	v_fma_f64 v[2:3], v[2:3], -0.5, v[68:69]
	s_delay_alu instid0(VALU_DEP_4) | instskip(NEXT) | instid1(VALU_DEP_4)
	v_fma_f64 v[12:13], v[10:11], s[16:17], v[12:13]
	v_fma_f64 v[4:5], v[10:11], s[18:19], v[4:5]
	s_delay_alu instid0(VALU_DEP_4) | instskip(NEXT) | instid1(VALU_DEP_3)
	v_add_f64_e32 v[6:7], v[6:7], v[45:46]
	v_fma_f64 v[118:119], v[0:1], s[24:25], v[12:13]
	s_delay_alu instid0(VALU_DEP_3) | instskip(SKIP_4) | instid1(VALU_DEP_4)
	v_fma_f64 v[122:123], v[0:1], s[24:25], v[4:5]
	v_add_f64_e32 v[4:5], v[66:67], v[35:36]
	v_add_f64_e32 v[0:1], v[35:36], v[47:48]
	v_add_f64_e64 v[12:13], v[39:40], -v[35:36]
	v_add_f64_e32 v[68:69], v[6:7], v[49:50]
	v_add_f64_e32 v[4:5], v[4:5], v[39:40]
	s_delay_alu instid0(VALU_DEP_4) | instskip(NEXT) | instid1(VALU_DEP_4)
	v_fma_f64 v[0:1], v[0:1], -0.5, v[66:67]
	v_add_f64_e32 v[12:13], v[12:13], v[20:21]
	s_delay_alu instid0(VALU_DEP_3) | instskip(NEXT) | instid1(VALU_DEP_3)
	v_add_f64_e32 v[4:5], v[4:5], v[33:34]
	v_fma_f64 v[6:7], v[10:11], s[22:23], v[0:1]
	v_fma_f64 v[0:1], v[10:11], s[20:21], v[0:1]
	;; [unrolled: 1-line block ×4, first 2 shown]
	v_mul_u32_u24_e32 v33, 0x91a3, v61
	s_delay_alu instid0(VALU_DEP_1) | instskip(NEXT) | instid1(VALU_DEP_1)
	v_lshrrev_b32_e32 v33, 23, v33
	v_mul_lo_u16 v33, 0xe1, v33
	s_delay_alu instid0(VALU_DEP_1) | instskip(NEXT) | instid1(VALU_DEP_1)
	v_sub_nc_u16 v52, v101, v33
	v_lshlrev_b16 v33, 5, v52
	s_delay_alu instid0(VALU_DEP_1)
	v_and_b32_e32 v33, 0xffff, v33
	v_add_f64_e32 v[66:67], v[4:5], v[47:48]
	v_add_f64_e64 v[4:5], v[45:46], -v[49:50]
	v_fma_f64 v[0:1], v[8:9], s[18:19], v[0:1]
	v_fma_f64 v[6:7], v[8:9], s[16:17], v[6:7]
	v_fma_f64 v[8:9], v[14:15], s[18:19], v[10:11]
	v_fma_f64 v[2:3], v[14:15], s[16:17], v[2:3]
	v_add_f64_e32 v[4:5], v[18:19], v[4:5]
	v_fma_f64 v[130:131], v[12:13], s[24:25], v[0:1]
	v_and_b32_e32 v0, 0xffff, v60
	v_fma_f64 v[126:127], v[12:13], s[24:25], v[6:7]
	s_delay_alu instid0(VALU_DEP_2) | instskip(NEXT) | instid1(VALU_DEP_1)
	v_mul_u32_u24_e32 v0, 0xe1, v0
	v_add_lshl_u32 v0, v0, v59, 4
	scratch_store_b32 off, v0, off offset:476 ; 4-byte Folded Spill
	global_wb scope:SCOPE_SE
	s_wait_storecnt 0x0
	s_barrier_signal -1
	s_barrier_wait -1
	global_inv scope:SCOPE_SE
	ds_store_b128 v0, v[62:65]
	ds_store_b128 v0, v[74:77] offset:720
	ds_store_b128 v0, v[91:94] offset:1440
	;; [unrolled: 1-line block ×4, first 2 shown]
	v_mad_u16 v0, 0xe1, v154, v155
	s_delay_alu instid0(VALU_DEP_1) | instskip(NEXT) | instid1(VALU_DEP_1)
	v_and_b32_e32 v0, 0xffff, v0
	v_lshlrev_b32_e32 v155, 4, v0
	v_mad_u16 v0, 0xe1, v43, v22
	ds_store_b128 v155, v[70:73]
	ds_store_b128 v155, v[102:105] offset:720
	ds_store_b128 v155, v[110:113] offset:1440
	;; [unrolled: 1-line block ×4, first 2 shown]
	v_fma_f64 v[128:129], v[4:5], s[24:25], v[8:9]
	v_fma_f64 v[132:133], v[4:5], s[24:25], v[2:3]
	v_and_b32_e32 v0, 0xffff, v0
	v_and_b32_e32 v115, 0xffff, v100
	s_delay_alu instid0(VALU_DEP_2) | instskip(NEXT) | instid1(VALU_DEP_2)
	v_lshlrev_b32_e32 v154, 4, v0
	v_lshlrev_b32_e32 v106, 5, v115
	ds_store_b128 v154, v[66:69]
	ds_store_b128 v154, v[118:121] offset:720
	ds_store_b128 v154, v[126:129] offset:1440
	;; [unrolled: 1-line block ×4, first 2 shown]
	global_wb scope:SCOPE_SE
	s_wait_dscnt 0x0
	s_barrier_signal -1
	s_barrier_wait -1
	global_inv scope:SCOPE_SE
	s_clause 0x1
	global_load_b128 v[8:11], v106, s[10:11] offset:3552
	global_load_b128 v[4:7], v106, s[10:11] offset:3568
	ds_load_b128 v[76:79], v44 offset:10800
	ds_load_b128 v[80:83], v44 offset:8640
	s_wait_loadcnt_dscnt 0x101
	v_mul_f64_e32 v[0:1], v[78:79], v[10:11]
	v_mul_f64_e32 v[2:3], v[76:77], v[10:11]
	scratch_store_b128 off, v[8:11], off offset:364 ; 16-byte Folded Spill
	v_fma_f64 v[0:1], v[76:77], v[8:9], -v[0:1]
	v_fma_f64 v[2:3], v[78:79], v[8:9], v[2:3]
	ds_load_b128 v[76:79], v44 offset:21600
	ds_load_b128 v[91:94], v44 offset:23760
	s_wait_loadcnt 0x0
	v_dual_mov_b32 v11, v7 :: v_dual_mov_b32 v10, v6
	v_dual_mov_b32 v9, v5 :: v_dual_mov_b32 v8, v4
	scratch_store_b128 off, v[8:11], off offset:348 ; 16-byte Folded Spill
	s_wait_dscnt 0x1
	v_mul_f64_e32 v[4:5], v[78:79], v[10:11]
	v_mul_f64_e32 v[6:7], v[76:77], v[10:11]
	s_delay_alu instid0(VALU_DEP_2) | instskip(NEXT) | instid1(VALU_DEP_2)
	v_fma_f64 v[4:5], v[76:77], v[8:9], -v[4:5]
	v_fma_f64 v[6:7], v[78:79], v[8:9], v[6:7]
	v_add_co_u32 v8, s26, 0xffffffa6, v115
	s_wait_alu 0xf1ff
	v_add_co_ci_u32_e64 v9, null, 0, -1, s26
	s_delay_alu instid0(VALU_DEP_1) | instskip(NEXT) | instid1(VALU_DEP_1)
	v_dual_cndmask_b32 v28, v8, v99 :: v_dual_cndmask_b32 v29, v9, v90
	v_lshlrev_b64_e32 v[8:9], 5, v[28:29]
	s_delay_alu instid0(VALU_DEP_1) | instskip(SKIP_1) | instid1(VALU_DEP_2)
	v_add_co_u32 v8, vcc_lo, s10, v8
	s_wait_alu 0xfffd
	v_add_co_ci_u32_e32 v9, vcc_lo, s11, v9, vcc_lo
	s_clause 0x1
	global_load_b128 v[116:119], v[8:9], off offset:3552
	global_load_b128 v[16:19], v[8:9], off offset:3568
	ds_load_b128 v[76:79], v44 offset:12960
	ds_load_b128 v[95:98], v44 offset:15120
	v_cmp_lt_u16_e32 vcc_lo, 0x59, v100
	v_add_f64_e32 v[41:42], v[0:1], v[4:5]
	v_add_f64_e32 v[45:46], v[2:3], v[6:7]
	s_wait_loadcnt_dscnt 0x101
	v_mul_f64_e32 v[8:9], v[78:79], v[118:119]
	s_wait_loadcnt 0x0
	scratch_store_b128 off, v[16:19], off offset:380 ; 16-byte Folded Spill
	s_clause 0x1
	global_load_b128 v[120:123], v106, s[10:11] offset:4992
	global_load_b128 v[24:27], v106, s[10:11] offset:5008
	v_mul_f64_e32 v[10:11], v[76:77], v[118:119]
	v_mul_f64_e32 v[12:13], v[93:94], v[18:19]
	;; [unrolled: 1-line block ×3, first 2 shown]
	v_fma_f64 v[8:9], v[76:77], v[116:117], -v[8:9]
	s_delay_alu instid0(VALU_DEP_4) | instskip(NEXT) | instid1(VALU_DEP_4)
	v_fma_f64 v[10:11], v[78:79], v[116:117], v[10:11]
	v_fma_f64 v[12:13], v[91:92], v[16:17], -v[12:13]
	s_delay_alu instid0(VALU_DEP_4)
	v_fma_f64 v[14:15], v[93:94], v[16:17], v[14:15]
	ds_load_b128 v[76:79], v44 offset:25920
	ds_load_b128 v[90:93], v44 offset:28080
	s_wait_loadcnt_dscnt 0x102
	v_mul_f64_e32 v[16:17], v[97:98], v[122:123]
	s_wait_loadcnt_dscnt 0x1
	v_mul_f64_e32 v[20:21], v[78:79], v[26:27]
	v_mul_f64_e32 v[22:23], v[76:77], v[26:27]
	scratch_store_b128 off, v[24:27], off offset:396 ; 16-byte Folded Spill
	v_mul_f64_e32 v[18:19], v[95:96], v[122:123]
	v_fma_f64 v[16:17], v[95:96], v[120:121], -v[16:17]
	v_fma_f64 v[20:21], v[76:77], v[24:25], -v[20:21]
	v_fma_f64 v[22:23], v[78:79], v[24:25], v[22:23]
	v_and_b32_e32 v24, 0xffff, v89
	v_fma_f64 v[18:19], v[97:98], v[120:121], v[18:19]
	s_delay_alu instid0(VALU_DEP_2) | instskip(NEXT) | instid1(VALU_DEP_1)
	v_mul_u32_u24_e32 v24, 0x91a3, v24
	v_lshrrev_b32_e32 v43, 23, v24
	s_delay_alu instid0(VALU_DEP_1) | instskip(NEXT) | instid1(VALU_DEP_1)
	v_mul_lo_u16 v24, 0xe1, v43
	v_sub_nc_u16 v51, v89, v24
	s_delay_alu instid0(VALU_DEP_1) | instskip(NEXT) | instid1(VALU_DEP_1)
	v_lshlrev_b16 v24, 5, v51
	v_and_b32_e32 v24, 0xffff, v24
	s_delay_alu instid0(VALU_DEP_1)
	v_add_co_u32 v24, s26, s10, v24
	s_wait_alu 0xf1ff
	v_add_co_ci_u32_e64 v25, null, s11, 0, s26
	v_add_co_u32 v33, s26, s10, v33
	s_wait_alu 0xf1ff
	v_add_co_ci_u32_e64 v34, null, s11, 0, s26
	s_clause 0x1
	global_load_b128 v[128:131], v[24:25], off offset:3552
	global_load_b128 v[124:127], v[24:25], off offset:3568
	ds_load_b128 v[76:79], v44 offset:17280
	ds_load_b128 v[94:97], v44 offset:19440
	s_clause 0x1
	global_load_b128 v[107:110], v[33:34], off offset:3552
	global_load_b128 v[111:114], v[33:34], off offset:3568
	ds_load_b128 v[60:63], v44 offset:30240
	s_wait_loadcnt_dscnt 0x302
	v_mul_f64_e32 v[24:25], v[78:79], v[130:131]
	v_mul_f64_e32 v[26:27], v[76:77], v[130:131]
	s_wait_loadcnt 0x2
	v_mul_f64_e32 v[29:30], v[92:93], v[126:127]
	s_wait_loadcnt_dscnt 0x101
	v_mul_f64_e32 v[33:34], v[96:97], v[109:110]
	s_wait_loadcnt_dscnt 0x0
	v_mul_f64_e32 v[37:38], v[62:63], v[113:114]
	v_mul_f64_e32 v[39:40], v[60:61], v[113:114]
	;; [unrolled: 1-line block ×4, first 2 shown]
	v_fma_f64 v[24:25], v[76:77], v[128:129], -v[24:25]
	v_fma_f64 v[26:27], v[78:79], v[128:129], v[26:27]
	v_fma_f64 v[29:30], v[90:91], v[124:125], -v[29:30]
	v_fma_f64 v[33:34], v[94:95], v[107:108], -v[33:34]
	;; [unrolled: 1-line block ×3, first 2 shown]
	v_fma_f64 v[39:40], v[62:63], v[111:112], v[39:40]
	ds_load_b128 v[60:63], v44
	ds_load_b128 v[76:79], v44 offset:2160
	v_fma_f64 v[31:32], v[92:93], v[124:125], v[31:32]
	v_fma_f64 v[35:36], v[96:97], v[107:108], v[35:36]
	s_wait_dscnt 0x1
	v_fma_f64 v[41:42], v[41:42], -0.5, v[60:61]
	v_add_f64_e32 v[47:48], v[62:63], v[2:3]
	v_add_f64_e32 v[49:50], v[60:61], v[0:1]
	v_add_f64_e64 v[2:3], v[2:3], -v[6:7]
	v_fma_f64 v[45:46], v[45:46], -0.5, v[62:63]
	v_add_f64_e64 v[0:1], v[0:1], -v[4:5]
	v_add_f64_e32 v[62:63], v[47:48], v[6:7]
	v_add_f64_e32 v[60:61], v[49:50], v[4:5]
	v_fma_f64 v[90:91], v[2:3], s[12:13], v[41:42]
	v_fma_f64 v[94:95], v[2:3], s[14:15], v[41:42]
	v_add_f64_e32 v[2:3], v[10:11], v[14:15]
	s_wait_dscnt 0x0
	v_add_f64_e32 v[4:5], v[78:79], v[10:11]
	v_fma_f64 v[92:93], v[0:1], s[14:15], v[45:46]
	v_fma_f64 v[96:97], v[0:1], s[12:13], v[45:46]
	v_add_f64_e32 v[0:1], v[8:9], v[12:13]
	v_add_f64_e64 v[10:11], v[10:11], -v[14:15]
	v_add_f64_e32 v[6:7], v[76:77], v[8:9]
	v_fma_f64 v[2:3], v[2:3], -0.5, v[78:79]
	v_add_f64_e32 v[78:79], v[4:5], v[14:15]
	v_add_f64_e64 v[4:5], v[8:9], -v[12:13]
	v_fma_f64 v[0:1], v[0:1], -0.5, v[76:77]
	v_add_f64_e32 v[76:77], v[6:7], v[12:13]
	v_add_f64_e64 v[12:13], v[18:19], -v[22:23]
	s_delay_alu instid0(VALU_DEP_4)
	v_fma_f64 v[104:105], v[4:5], s[14:15], v[2:3]
	v_fma_f64 v[87:88], v[4:5], s[12:13], v[2:3]
	v_add_f64_e32 v[4:5], v[16:17], v[20:21]
	v_fma_f64 v[102:103], v[10:11], s[12:13], v[0:1]
	v_fma_f64 v[85:86], v[10:11], s[14:15], v[0:1]
	ds_load_b128 v[64:67], v44 offset:4320
	ds_load_b128 v[0:3], v44 offset:6480
	global_wb scope:SCOPE_SE
	s_wait_storecnt_dscnt 0x0
	s_barrier_signal -1
	s_barrier_wait -1
	global_inv scope:SCOPE_SE
	ds_store_b128 v44, v[60:63]
	ds_store_b128 v44, v[90:93] offset:3600
	ds_store_b128 v44, v[94:97] offset:7200
	v_add_f64_e32 v[10:11], v[64:65], v[16:17]
	v_fma_f64 v[6:7], v[4:5], -0.5, v[64:65]
	v_add_f64_e32 v[4:5], v[18:19], v[22:23]
	s_delay_alu instid0(VALU_DEP_3) | instskip(SKIP_1) | instid1(VALU_DEP_4)
	v_add_f64_e32 v[64:65], v[10:11], v[20:21]
	v_add_f64_e64 v[10:11], v[16:17], -v[20:21]
	v_fma_f64 v[16:17], v[12:13], s[14:15], v[6:7]
	s_delay_alu instid0(VALU_DEP_4) | instskip(SKIP_1) | instid1(VALU_DEP_2)
	v_fma_f64 v[8:9], v[4:5], -0.5, v[66:67]
	v_add_f64_e32 v[4:5], v[66:67], v[18:19]
	v_fma_f64 v[18:19], v[10:11], s[12:13], v[8:9]
	s_delay_alu instid0(VALU_DEP_2)
	v_add_f64_e32 v[66:67], v[4:5], v[22:23]
	v_fma_f64 v[4:5], v[12:13], s[12:13], v[6:7]
	v_fma_f64 v[6:7], v[10:11], s[14:15], v[8:9]
	v_add_f64_e32 v[8:9], v[24:25], v[29:30]
	v_add_f64_e32 v[10:11], v[26:27], v[31:32]
	v_add_f64_e64 v[22:23], v[26:27], -v[31:32]
	s_delay_alu instid0(VALU_DEP_3) | instskip(SKIP_1) | instid1(VALU_DEP_4)
	v_fma_f64 v[8:9], v[8:9], -0.5, v[0:1]
	v_add_f64_e32 v[0:1], v[0:1], v[24:25]
	v_fma_f64 v[10:11], v[10:11], -0.5, v[2:3]
	v_add_f64_e32 v[2:3], v[2:3], v[26:27]
	s_delay_alu instid0(VALU_DEP_4) | instskip(NEXT) | instid1(VALU_DEP_4)
	v_fma_f64 v[20:21], v[22:23], s[12:13], v[8:9]
	v_add_f64_e32 v[12:13], v[0:1], v[29:30]
	v_add_f64_e64 v[0:1], v[24:25], -v[29:30]
	v_fma_f64 v[24:25], v[22:23], s[14:15], v[8:9]
	v_add_f64_e32 v[14:15], v[2:3], v[31:32]
	v_add_f64_e32 v[8:9], v[80:81], v[33:34]
	v_add_f64_e64 v[29:30], v[35:36], -v[39:40]
	v_add_f64_e64 v[31:32], v[33:34], -v[37:38]
	v_fma_f64 v[22:23], v[0:1], s[14:15], v[10:11]
	v_fma_f64 v[26:27], v[0:1], s[12:13], v[10:11]
	v_add_f64_e32 v[0:1], v[33:34], v[37:38]
	s_delay_alu instid0(VALU_DEP_1) | instskip(SKIP_2) | instid1(VALU_DEP_3)
	v_fma_f64 v[2:3], v[0:1], -0.5, v[80:81]
	v_add_f64_e32 v[0:1], v[35:36], v[39:40]
	v_add_f64_e32 v[80:81], v[8:9], v[37:38]
	v_fma_f64 v[8:9], v[29:30], s[14:15], v[2:3]
	s_delay_alu instid0(VALU_DEP_3) | instskip(SKIP_1) | instid1(VALU_DEP_1)
	v_fma_f64 v[10:11], v[0:1], -0.5, v[82:83]
	v_add_f64_e32 v[0:1], v[82:83], v[35:36]
	v_add_f64_e32 v[82:83], v[0:1], v[39:40]
	v_fma_f64 v[0:1], v[29:30], s[12:13], v[2:3]
	s_delay_alu instid0(VALU_DEP_4) | instskip(SKIP_3) | instid1(VALU_DEP_1)
	v_fma_f64 v[2:3], v[31:32], s[14:15], v[10:11]
	v_fma_f64 v[10:11], v[31:32], s[12:13], v[10:11]
	s_wait_alu 0xfffd
	v_cndmask_b32_e64 v29, 0, 0x2a3, vcc_lo
	v_add_lshl_u32 v133, v28, v29, 4
	ds_store_b128 v133, v[76:79]
	ds_store_b128 v133, v[102:105] offset:3600
	ds_store_b128 v133, v[85:88] offset:7200
	;; [unrolled: 1-line block ×5, first 2 shown]
	v_mad_u16 v4, 0x2a3, v43, v51
	s_delay_alu instid0(VALU_DEP_1) | instskip(NEXT) | instid1(VALU_DEP_1)
	v_and_b32_e32 v4, 0xffff, v4
	v_lshlrev_b32_e32 v132, 4, v4
	v_and_b32_e32 v4, 0xffff, v52
	ds_store_b128 v132, v[12:15]
	ds_store_b128 v132, v[20:23] offset:3600
	ds_store_b128 v132, v[24:27] offset:7200
	v_lshlrev_b32_e32 v91, 4, v4
	ds_store_b128 v91, v[80:83] offset:21600
	ds_store_b128 v91, v[0:3] offset:25200
	ds_store_b128 v91, v[8:11] offset:28800
	global_wb scope:SCOPE_SE
	s_wait_dscnt 0x0
	s_barrier_signal -1
	s_barrier_wait -1
	global_inv scope:SCOPE_SE
	s_clause 0x1
	global_load_b128 v[4:7], v106, s[10:11] offset:10752
	global_load_b128 v[22:25], v106, s[10:11] offset:10768
	ds_load_b128 v[0:3], v44 offset:10800
	ds_load_b128 v[16:19], v44 offset:8640
	s_wait_loadcnt 0x1
	v_mov_b32_e32 v9, v7
	v_dual_mov_b32 v8, v6 :: v_dual_mov_b32 v7, v5
	v_mov_b32_e32 v6, v4
	s_wait_dscnt 0x1
	s_delay_alu instid0(VALU_DEP_2) | instskip(SKIP_3) | instid1(VALU_DEP_1)
	v_mul_f64_e32 v[4:5], v[2:3], v[8:9]
	scratch_store_b128 off, v[6:9], off offset:252 ; 16-byte Folded Spill
	v_fma_f64 v[4:5], v[0:1], v[6:7], -v[4:5]
	v_mul_f64_e32 v[0:1], v[0:1], v[8:9]
	v_fma_f64 v[6:7], v[2:3], v[6:7], v[0:1]
	ds_load_b128 v[0:3], v44 offset:21600
	ds_load_b128 v[8:11], v44 offset:23760
	s_wait_loadcnt 0x0
	scratch_store_b128 off, v[22:25], off offset:268 ; 16-byte Folded Spill
	s_wait_dscnt 0x1
	v_mul_f64_e32 v[12:13], v[2:3], v[24:25]
	s_delay_alu instid0(VALU_DEP_1) | instskip(SKIP_1) | instid1(VALU_DEP_1)
	v_fma_f64 v[20:21], v[0:1], v[22:23], -v[12:13]
	v_mul_f64_e32 v[0:1], v[0:1], v[24:25]
	v_fma_f64 v[22:23], v[2:3], v[22:23], v[0:1]
	v_lshlrev_b32_e32 v0, 5, v99
	s_clause 0x1
	global_load_b128 v[32:35], v0, s[10:11] offset:10752
	global_load_b128 v[28:31], v0, s[10:11] offset:10768
	s_wait_loadcnt 0x1
	scratch_store_b128 off, v[32:35], off offset:284 ; 16-byte Folded Spill
	ds_load_b128 v[0:3], v44 offset:12960
	ds_load_b128 v[12:15], v44 offset:15120
	s_wait_dscnt 0x1
	v_mul_f64_e32 v[24:25], v[2:3], v[34:35]
	s_delay_alu instid0(VALU_DEP_1) | instskip(SKIP_1) | instid1(VALU_DEP_1)
	v_fma_f64 v[24:25], v[0:1], v[32:33], -v[24:25]
	v_mul_f64_e32 v[0:1], v[0:1], v[34:35]
	v_fma_f64 v[26:27], v[2:3], v[32:33], v[0:1]
	s_wait_loadcnt 0x0
	v_mov_b32_e32 v33, v31
	v_dual_mov_b32 v32, v30 :: v_dual_mov_b32 v31, v29
	v_mov_b32_e32 v30, v28
	s_delay_alu instid0(VALU_DEP_2) | instskip(SKIP_3) | instid1(VALU_DEP_1)
	v_mul_f64_e32 v[0:1], v[10:11], v[32:33]
	scratch_store_b128 off, v[30:33], off offset:300 ; 16-byte Folded Spill
	v_fma_f64 v[28:29], v[8:9], v[30:31], -v[0:1]
	v_mul_f64_e32 v[0:1], v[8:9], v[32:33]
	v_fma_f64 v[30:31], v[10:11], v[30:31], v[0:1]
	v_lshlrev_b32_e32 v0, 5, v84
	s_clause 0x1
	global_load_b128 v[92:95], v0, s[10:11] offset:10752
	global_load_b128 v[38:41], v0, s[10:11] offset:10768
	s_wait_loadcnt_dscnt 0x100
	v_mul_f64_e32 v[0:1], v[14:15], v[94:95]
	s_wait_loadcnt 0x0
	scratch_store_b128 off, v[38:41], off offset:316 ; 16-byte Folded Spill
	v_fma_f64 v[32:33], v[12:13], v[92:93], -v[0:1]
	v_mul_f64_e32 v[0:1], v[12:13], v[94:95]
	s_delay_alu instid0(VALU_DEP_1) | instskip(SKIP_4) | instid1(VALU_DEP_1)
	v_fma_f64 v[34:35], v[14:15], v[92:93], v[0:1]
	ds_load_b128 v[0:3], v44 offset:25920
	ds_load_b128 v[8:11], v44 offset:28080
	s_wait_dscnt 0x1
	v_mul_f64_e32 v[12:13], v[2:3], v[40:41]
	v_fma_f64 v[36:37], v[0:1], v[38:39], -v[12:13]
	v_mul_f64_e32 v[0:1], v[0:1], v[40:41]
	s_delay_alu instid0(VALU_DEP_1)
	v_fma_f64 v[38:39], v[2:3], v[38:39], v[0:1]
	v_lshlrev_b32_e32 v0, 5, v89
	s_clause 0x1
	global_load_b128 v[96:99], v0, s[10:11] offset:10752
	global_load_b128 v[45:48], v0, s[10:11] offset:10768
	ds_load_b128 v[0:3], v44 offset:17280
	ds_load_b128 v[12:15], v44 offset:19440
	s_wait_loadcnt_dscnt 0x101
	v_mul_f64_e32 v[40:41], v[2:3], v[98:99]
	s_wait_loadcnt 0x0
	scratch_store_b128 off, v[45:48], off offset:332 ; 16-byte Folded Spill
	v_fma_f64 v[61:62], v[0:1], v[96:97], -v[40:41]
	v_mul_f64_e32 v[0:1], v[0:1], v[98:99]
	s_delay_alu instid0(VALU_DEP_1) | instskip(SKIP_1) | instid1(VALU_DEP_1)
	v_fma_f64 v[63:64], v[2:3], v[96:97], v[0:1]
	v_mul_f64_e32 v[0:1], v[10:11], v[47:48]
	v_fma_f64 v[65:66], v[8:9], v[45:46], -v[0:1]
	v_mul_f64_e32 v[0:1], v[8:9], v[47:48]
	s_delay_alu instid0(VALU_DEP_1)
	v_fma_f64 v[67:68], v[10:11], v[45:46], v[0:1]
	v_lshlrev_b32_e32 v0, 5, v101
	s_clause 0x1
	global_load_b128 v[85:88], v0, s[10:11] offset:10752
	global_load_b128 v[100:103], v0, s[10:11] offset:10768
	s_add_nc_u64 s[10:11], s[8:9], 0x7e90
	s_wait_loadcnt_dscnt 0x100
	v_mul_f64_e32 v[0:1], v[14:15], v[87:88]
	s_delay_alu instid0(VALU_DEP_1) | instskip(SKIP_2) | instid1(VALU_DEP_2)
	v_fma_f64 v[69:70], v[12:13], v[85:86], -v[0:1]
	v_mul_f64_e32 v[0:1], v[12:13], v[87:88]
	v_add_f64_e32 v[12:13], v[4:5], v[20:21]
	v_fma_f64 v[71:72], v[14:15], v[85:86], v[0:1]
	ds_load_b128 v[0:3], v44 offset:30240
	s_wait_loadcnt_dscnt 0x0
	v_mul_f64_e32 v[8:9], v[2:3], v[102:103]
	s_delay_alu instid0(VALU_DEP_1) | instskip(SKIP_1) | instid1(VALU_DEP_1)
	v_fma_f64 v[73:74], v[0:1], v[100:101], -v[8:9]
	v_mul_f64_e32 v[0:1], v[0:1], v[102:103]
	v_fma_f64 v[75:76], v[2:3], v[100:101], v[0:1]
	ds_load_b128 v[0:3], v44
	ds_load_b128 v[8:11], v44 offset:2160
	s_wait_dscnt 0x1
	v_fma_f64 v[40:41], v[12:13], -0.5, v[0:1]
	v_add_f64_e32 v[12:13], v[6:7], v[22:23]
	v_add_f64_e32 v[0:1], v[0:1], v[4:5]
	s_delay_alu instid0(VALU_DEP_2) | instskip(NEXT) | instid1(VALU_DEP_2)
	v_fma_f64 v[42:43], v[12:13], -0.5, v[2:3]
	v_add_f64_e32 v[12:13], v[0:1], v[20:21]
	v_add_f64_e64 v[0:1], v[4:5], -v[20:21]
	v_add_f64_e32 v[2:3], v[2:3], v[6:7]
	v_add_f64_e64 v[6:7], v[6:7], -v[22:23]
	s_wait_dscnt 0x0
	v_add_f64_e32 v[4:5], v[10:11], v[26:27]
	v_add_f64_e64 v[20:21], v[26:27], -v[30:31]
	v_fma_f64 v[59:60], v[0:1], s[14:15], v[42:43]
	v_fma_f64 v[55:56], v[0:1], s[12:13], v[42:43]
	v_add_f64_e32 v[0:1], v[24:25], v[28:29]
	v_add_f64_e32 v[14:15], v[2:3], v[22:23]
	;; [unrolled: 1-line block ×3, first 2 shown]
	v_fma_f64 v[57:58], v[6:7], s[12:13], v[40:41]
	v_fma_f64 v[53:54], v[6:7], s[14:15], v[40:41]
	v_add_f64_e32 v[6:7], v[8:9], v[24:25]
	v_add_f64_e32 v[22:23], v[34:35], v[38:39]
	v_add_f64_e64 v[26:27], v[32:33], -v[36:37]
	v_fma_f64 v[0:1], v[0:1], -0.5, v[8:9]
	v_fma_f64 v[2:3], v[2:3], -0.5, v[10:11]
	v_add_f64_e32 v[10:11], v[4:5], v[30:31]
	v_add_f64_e64 v[4:5], v[24:25], -v[28:29]
	v_add_f64_e32 v[8:9], v[6:7], v[28:29]
	v_add_f64_e64 v[24:25], v[34:35], -v[38:39]
	v_fma_f64 v[49:50], v[20:21], s[12:13], v[0:1]
	v_fma_f64 v[45:46], v[20:21], s[14:15], v[0:1]
	v_add_f64_e32 v[20:21], v[32:33], v[36:37]
	v_fma_f64 v[51:52], v[4:5], s[14:15], v[2:3]
	v_fma_f64 v[47:48], v[4:5], s[12:13], v[2:3]
	ds_load_b128 v[0:3], v44 offset:4320
	ds_load_b128 v[4:7], v44 offset:6480
	s_wait_dscnt 0x1
	v_fma_f64 v[22:23], v[22:23], -0.5, v[2:3]
	v_add_f64_e32 v[2:3], v[2:3], v[34:35]
	v_fma_f64 v[20:21], v[20:21], -0.5, v[0:1]
	v_add_f64_e32 v[0:1], v[0:1], v[32:33]
	s_delay_alu instid0(VALU_DEP_4) | instskip(NEXT) | instid1(VALU_DEP_4)
	v_fma_f64 v[42:43], v[26:27], s[12:13], v[22:23]
	v_add_f64_e32 v[2:3], v[2:3], v[38:39]
	v_fma_f64 v[38:39], v[26:27], s[14:15], v[22:23]
	v_add_f64_e32 v[22:23], v[63:64], v[67:68]
	v_add_f64_e64 v[26:27], v[61:62], -v[65:66]
	v_fma_f64 v[40:41], v[24:25], s[14:15], v[20:21]
	v_add_f64_e32 v[0:1], v[0:1], v[36:37]
	v_fma_f64 v[36:37], v[24:25], s[12:13], v[20:21]
	v_add_f64_e32 v[20:21], v[61:62], v[65:66]
	v_add_f64_e64 v[24:25], v[63:64], -v[67:68]
	s_wait_dscnt 0x0
	v_fma_f64 v[22:23], v[22:23], -0.5, v[6:7]
	v_add_f64_e32 v[6:7], v[6:7], v[63:64]
	s_delay_alu instid0(VALU_DEP_4)
	v_fma_f64 v[20:21], v[20:21], -0.5, v[4:5]
	v_add_f64_e32 v[4:5], v[4:5], v[61:62]
	v_add_f64_e64 v[61:62], v[69:70], -v[73:74]
	v_fma_f64 v[34:35], v[26:27], s[14:15], v[22:23]
	v_fma_f64 v[30:31], v[26:27], s[12:13], v[22:23]
	v_add_f64_e32 v[6:7], v[6:7], v[67:68]
	v_fma_f64 v[32:33], v[24:25], s[12:13], v[20:21]
	v_fma_f64 v[28:29], v[24:25], s[14:15], v[20:21]
	v_add_f64_e32 v[20:21], v[69:70], v[73:74]
	v_add_f64_e64 v[24:25], v[71:72], -v[75:76]
	v_add_f64_e32 v[4:5], v[4:5], v[65:66]
	s_delay_alu instid0(VALU_DEP_3) | instskip(SKIP_2) | instid1(VALU_DEP_2)
	v_fma_f64 v[22:23], v[20:21], -0.5, v[16:17]
	v_add_f64_e32 v[20:21], v[71:72], v[75:76]
	v_add_f64_e32 v[16:17], v[16:17], v[69:70]
	v_fma_f64 v[26:27], v[20:21], -0.5, v[18:19]
	v_add_f64_e32 v[18:19], v[18:19], v[71:72]
	s_delay_alu instid0(VALU_DEP_3)
	v_add_f64_e32 v[16:17], v[16:17], v[73:74]
	v_fma_f64 v[20:21], v[24:25], s[12:13], v[22:23]
	v_fma_f64 v[24:25], v[24:25], s[14:15], v[22:23]
	;; [unrolled: 1-line block ×3, first 2 shown]
	v_add_f64_e32 v[18:19], v[18:19], v[75:76]
	v_fma_f64 v[26:27], v[61:62], s[12:13], v[26:27]
	ds_store_b128 v44, v[12:15]
	ds_store_b128 v44, v[8:11] offset:2160
	ds_store_b128 v44, v[0:3] offset:4320
	ds_store_b128 v44, v[4:7] offset:6480
	ds_store_b128 v44, v[53:56] offset:21600
	ds_store_b128 v44, v[45:48] offset:23760
	ds_store_b128 v44, v[49:52] offset:12960
	ds_store_b128 v44, v[36:39] offset:15120
	ds_store_b128 v44, v[40:43] offset:25920
	ds_store_b128 v44, v[28:31] offset:28080
	ds_store_b128 v44, v[16:19] offset:8640
	ds_store_b128 v44, v[57:60] offset:10800
	ds_store_b128 v44, v[32:35] offset:17280
	ds_store_b128 v44, v[20:23] offset:19440
	ds_store_b128 v44, v[24:27] offset:30240
	global_wb scope:SCOPE_SE
	s_wait_storecnt_dscnt 0x0
	s_barrier_signal -1
	s_barrier_wait -1
	global_inv scope:SCOPE_SE
	global_load_b128 v[0:3], v44, s[8:9] offset:32400
	ds_load_b128 v[4:7], v44
	ds_load_b128 v[8:11], v44 offset:2160
	s_clause 0x4
	global_load_b128 v[16:19], v44, s[10:11] offset:10800
	global_load_b128 v[24:27], v44, s[10:11] offset:8640
	;; [unrolled: 1-line block ×5, first 2 shown]
	ds_load_b128 v[53:56], v44 offset:30240
	ds_load_b128 v[20:23], v44 offset:10800
	ds_load_b128 v[28:31], v44 offset:8640
	ds_load_b128 v[36:39], v44 offset:21600
	ds_load_b128 v[45:48], v44 offset:23760
	ds_load_b128 v[57:60], v44 offset:12960
	global_load_b128 v[61:64], v44, s[10:11] offset:30240
	s_wait_loadcnt_dscnt 0x607
	v_mul_f64_e32 v[12:13], v[6:7], v[2:3]
	v_mul_f64_e32 v[2:3], v[4:5], v[2:3]
	s_delay_alu instid0(VALU_DEP_2) | instskip(NEXT) | instid1(VALU_DEP_2)
	v_fma_f64 v[77:78], v[4:5], v[0:1], -v[12:13]
	v_fma_f64 v[79:80], v[6:7], v[0:1], v[2:3]
	s_wait_loadcnt_dscnt 0x504
	v_mul_f64_e32 v[0:1], v[22:23], v[18:19]
	v_mul_f64_e32 v[2:3], v[20:21], v[18:19]
	global_load_b128 v[12:15], v44, s[10:11] offset:15120
	v_fma_f64 v[81:82], v[20:21], v[16:17], -v[0:1]
	v_fma_f64 v[83:84], v[22:23], v[16:17], v[2:3]
	s_wait_loadcnt_dscnt 0x402
	v_mul_f64_e32 v[0:1], v[38:39], v[34:35]
	v_mul_f64_e32 v[2:3], v[36:37], v[34:35]
	s_clause 0x1
	global_load_b128 v[20:23], v44, s[10:11] offset:6480
	global_load_b128 v[16:19], v44, s[10:11] offset:28080
	v_fma_f64 v[73:74], v[36:37], v[32:33], -v[0:1]
	v_fma_f64 v[75:76], v[38:39], v[32:33], v[2:3]
	s_wait_loadcnt 0x4
	v_mul_f64_e32 v[0:1], v[10:11], v[51:52]
	v_mul_f64_e32 v[2:3], v[8:9], v[51:52]
	s_delay_alu instid0(VALU_DEP_2) | instskip(NEXT) | instid1(VALU_DEP_2)
	v_fma_f64 v[69:70], v[8:9], v[49:50], -v[0:1]
	v_fma_f64 v[71:72], v[10:11], v[49:50], v[2:3]
	ds_load_b128 v[0:3], v44 offset:15120
	global_load_b128 v[49:52], v44, s[10:11] offset:12960
	s_wait_loadcnt_dscnt 0x1
	v_mul_f64_e32 v[4:5], v[59:60], v[51:52]
	v_mul_f64_e32 v[6:7], v[57:58], v[51:52]
	s_delay_alu instid0(VALU_DEP_2) | instskip(NEXT) | instid1(VALU_DEP_2)
	v_fma_f64 v[65:66], v[57:58], v[49:50], -v[4:5]
	v_fma_f64 v[67:68], v[59:60], v[49:50], v[6:7]
	v_mul_f64_e32 v[4:5], v[47:48], v[42:43]
	v_mul_f64_e32 v[6:7], v[45:46], v[42:43]
	ds_load_b128 v[49:52], v44 offset:4320
	v_fma_f64 v[57:58], v[45:46], v[40:41], -v[4:5]
	v_fma_f64 v[59:60], v[47:48], v[40:41], v[6:7]
	ds_load_b128 v[4:7], v44 offset:6480
	global_load_b128 v[45:48], v44, s[10:11] offset:4320
	s_wait_loadcnt_dscnt 0x1
	v_mul_f64_e32 v[8:9], v[51:52], v[47:48]
	v_mul_f64_e32 v[10:11], v[49:50], v[47:48]
	s_delay_alu instid0(VALU_DEP_2) | instskip(NEXT) | instid1(VALU_DEP_2)
	v_fma_f64 v[47:48], v[49:50], v[45:46], -v[8:9]
	v_fma_f64 v[49:50], v[51:52], v[45:46], v[10:11]
	v_mul_f64_e32 v[8:9], v[2:3], v[14:15]
	v_mul_f64_e32 v[10:11], v[0:1], v[14:15]
	s_delay_alu instid0(VALU_DEP_2) | instskip(NEXT) | instid1(VALU_DEP_2)
	v_fma_f64 v[36:37], v[0:1], v[12:13], -v[8:9]
	v_fma_f64 v[38:39], v[2:3], v[12:13], v[10:11]
	global_load_b128 v[12:15], v44, s[10:11] offset:25920
	ds_load_b128 v[0:3], v44 offset:25920
	ds_load_b128 v[8:11], v44 offset:28080
	s_wait_loadcnt_dscnt 0x1
	v_mul_f64_e32 v[32:33], v[2:3], v[14:15]
	v_mul_f64_e32 v[14:15], v[0:1], v[14:15]
	s_delay_alu instid0(VALU_DEP_2) | instskip(NEXT) | instid1(VALU_DEP_2)
	v_fma_f64 v[32:33], v[0:1], v[12:13], -v[32:33]
	v_fma_f64 v[34:35], v[2:3], v[12:13], v[14:15]
	v_mul_f64_e32 v[0:1], v[6:7], v[22:23]
	v_mul_f64_e32 v[2:3], v[4:5], v[22:23]
	s_delay_alu instid0(VALU_DEP_2) | instskip(NEXT) | instid1(VALU_DEP_2)
	v_fma_f64 v[4:5], v[4:5], v[20:21], -v[0:1]
	v_fma_f64 v[6:7], v[6:7], v[20:21], v[2:3]
	s_clause 0x1
	global_load_b128 v[12:15], v44, s[10:11] offset:17280
	global_load_b128 v[20:23], v44, s[10:11] offset:19440
	ds_load_b128 v[0:3], v44 offset:17280
	ds_load_b128 v[40:43], v44 offset:19440
	s_wait_loadcnt_dscnt 0x101
	v_mul_f64_e32 v[45:46], v[2:3], v[14:15]
	v_mul_f64_e32 v[14:15], v[0:1], v[14:15]
	s_delay_alu instid0(VALU_DEP_2) | instskip(NEXT) | instid1(VALU_DEP_2)
	v_fma_f64 v[0:1], v[0:1], v[12:13], -v[45:46]
	v_fma_f64 v[2:3], v[2:3], v[12:13], v[14:15]
	v_mul_f64_e32 v[12:13], v[10:11], v[18:19]
	v_mul_f64_e32 v[14:15], v[8:9], v[18:19]
	s_wait_loadcnt_dscnt 0x0
	v_mul_f64_e32 v[18:19], v[40:41], v[22:23]
	s_delay_alu instid0(VALU_DEP_3) | instskip(NEXT) | instid1(VALU_DEP_3)
	v_fma_f64 v[8:9], v[8:9], v[16:17], -v[12:13]
	v_fma_f64 v[10:11], v[10:11], v[16:17], v[14:15]
	v_mul_f64_e32 v[16:17], v[42:43], v[22:23]
	v_mul_f64_e32 v[12:13], v[30:31], v[26:27]
	;; [unrolled: 1-line block ×3, first 2 shown]
	v_fma_f64 v[18:19], v[42:43], v[20:21], v[18:19]
	v_mul_f64_e32 v[22:23], v[53:54], v[63:64]
	v_fma_f64 v[16:17], v[40:41], v[20:21], -v[16:17]
	v_mul_f64_e32 v[20:21], v[55:56], v[63:64]
	v_fma_f64 v[12:13], v[28:29], v[24:25], -v[12:13]
	v_fma_f64 v[14:15], v[30:31], v[24:25], v[14:15]
	v_fma_f64 v[22:23], v[55:56], v[61:62], v[22:23]
	s_delay_alu instid0(VALU_DEP_4)
	v_fma_f64 v[20:21], v[53:54], v[61:62], -v[20:21]
	ds_store_b128 v44, v[77:80]
	ds_store_b128 v44, v[69:72] offset:2160
	ds_store_b128 v44, v[73:76] offset:21600
	;; [unrolled: 1-line block ×14, first 2 shown]
	global_wb scope:SCOPE_SE
	s_wait_dscnt 0x0
	s_barrier_signal -1
	s_barrier_wait -1
	global_inv scope:SCOPE_SE
	ds_load_b128 v[0:3], v44 offset:10800
	ds_load_b128 v[4:7], v44
	ds_load_b128 v[8:11], v44 offset:2160
	ds_load_b128 v[12:15], v44 offset:8640
	;; [unrolled: 1-line block ×4, first 2 shown]
	s_wait_dscnt 0x4
	v_add_f64_e32 v[24:25], v[4:5], v[0:1]
	v_add_f64_e32 v[26:27], v[6:7], v[2:3]
	s_wait_dscnt 0x1
	v_add_f64_e32 v[45:46], v[0:1], v[16:17]
	v_add_f64_e64 v[47:48], v[2:3], -v[18:19]
	v_add_f64_e32 v[49:50], v[2:3], v[18:19]
	v_add_f64_e64 v[51:52], v[0:1], -v[16:17]
	v_add_f64_e32 v[0:1], v[24:25], v[16:17]
	v_add_f64_e32 v[2:3], v[26:27], v[18:19]
	ds_load_b128 v[16:19], v44 offset:12960
	ds_load_b128 v[24:27], v44 offset:15120
	s_wait_dscnt 0x1
	v_add_f64_e32 v[28:29], v[8:9], v[16:17]
	v_add_f64_e32 v[30:31], v[10:11], v[18:19]
	;; [unrolled: 1-line block ×3, first 2 shown]
	v_add_f64_e64 v[55:56], v[18:19], -v[22:23]
	v_add_f64_e32 v[57:58], v[18:19], v[22:23]
	v_add_f64_e64 v[59:60], v[16:17], -v[20:21]
	v_add_f64_e32 v[16:17], v[28:29], v[20:21]
	v_add_f64_e32 v[18:19], v[30:31], v[22:23]
	ds_load_b128 v[20:23], v44 offset:4320
	ds_load_b128 v[28:31], v44 offset:6480
	;; [unrolled: 1-line block ×4, first 2 shown]
	s_wait_dscnt 0x3
	v_add_f64_e32 v[40:41], v[20:21], v[24:25]
	v_add_f64_e32 v[42:43], v[22:23], v[26:27]
	s_wait_dscnt 0x1
	v_add_f64_e32 v[61:62], v[24:25], v[32:33]
	v_add_f64_e64 v[63:64], v[26:27], -v[34:35]
	v_add_f64_e32 v[65:66], v[26:27], v[34:35]
	v_add_f64_e64 v[67:68], v[24:25], -v[32:33]
	v_add_f64_e32 v[24:25], v[40:41], v[32:33]
	v_add_f64_e32 v[26:27], v[42:43], v[34:35]
	ds_load_b128 v[32:35], v44 offset:17280
	ds_load_b128 v[40:43], v44 offset:19440
	s_wait_dscnt 0x1
	v_add_f64_e32 v[69:70], v[28:29], v[32:33]
	v_add_f64_e32 v[71:72], v[30:31], v[34:35]
	;; [unrolled: 1-line block ×3, first 2 shown]
	v_add_f64_e64 v[75:76], v[34:35], -v[38:39]
	v_add_f64_e32 v[77:78], v[34:35], v[38:39]
	v_add_f64_e64 v[79:80], v[32:33], -v[36:37]
	v_add_f64_e32 v[32:33], v[69:70], v[36:37]
	v_add_f64_e32 v[34:35], v[71:72], v[38:39]
	ds_load_b128 v[36:39], v44 offset:30240
	s_wait_dscnt 0x1
	v_add_f64_e32 v[69:70], v[12:13], v[40:41]
	global_wb scope:SCOPE_SE
	s_wait_dscnt 0x0
	s_barrier_signal -1
	s_barrier_wait -1
	global_inv scope:SCOPE_SE
	v_add_f64_e32 v[71:72], v[14:15], v[42:43]
	v_add_f64_e32 v[81:82], v[40:41], v[36:37]
	v_add_f64_e64 v[104:105], v[40:41], -v[36:37]
	v_fma_f64 v[40:41], v[45:46], -0.5, v[4:5]
	scratch_load_b32 v45, off, off offset:248 th:TH_LOAD_LU ; 4-byte Folded Reload
	v_add_f64_e64 v[83:84], v[42:43], -v[38:39]
	v_add_f64_e32 v[89:90], v[42:43], v[38:39]
	v_fma_f64 v[42:43], v[49:50], -0.5, v[6:7]
	v_add_f64_e32 v[36:37], v[69:70], v[36:37]
	v_add_f64_e32 v[38:39], v[71:72], v[38:39]
	v_fma_f64 v[4:5], v[47:48], s[14:15], v[40:41]
	v_fma_f64 v[40:41], v[47:48], s[12:13], v[40:41]
	;; [unrolled: 1-line block ×4, first 2 shown]
	s_wait_loadcnt 0x0
	ds_store_b128 v45, v[0:3]
	ds_store_b128 v45, v[4:7] offset:16
	ds_store_b128 v45, v[40:43] offset:32
	v_fma_f64 v[2:3], v[53:54], -0.5, v[8:9]
	scratch_load_b32 v8, off, off offset:524 th:TH_LOAD_LU ; 4-byte Folded Reload
	v_fma_f64 v[6:7], v[57:58], -0.5, v[10:11]
	v_fma_f64 v[0:1], v[55:56], s[14:15], v[2:3]
	v_fma_f64 v[4:5], v[55:56], s[12:13], v[2:3]
	s_delay_alu instid0(VALU_DEP_3)
	v_fma_f64 v[2:3], v[59:60], s[12:13], v[6:7]
	v_fma_f64 v[6:7], v[59:60], s[14:15], v[6:7]
	s_wait_loadcnt 0x0
	ds_store_b128 v8, v[16:19]
	ds_store_b128 v8, v[0:3] offset:16
	ds_store_b128 v8, v[4:7] offset:32
	scratch_load_b32 v8, off, off offset:520 th:TH_LOAD_LU ; 4-byte Folded Reload
	v_fma_f64 v[2:3], v[61:62], -0.5, v[20:21]
	v_fma_f64 v[6:7], v[65:66], -0.5, v[22:23]
	s_delay_alu instid0(VALU_DEP_2) | instskip(SKIP_1) | instid1(VALU_DEP_3)
	v_fma_f64 v[0:1], v[63:64], s[14:15], v[2:3]
	v_fma_f64 v[4:5], v[63:64], s[12:13], v[2:3]
	v_fma_f64 v[2:3], v[67:68], s[12:13], v[6:7]
	v_fma_f64 v[6:7], v[67:68], s[14:15], v[6:7]
	s_wait_loadcnt 0x0
	ds_store_b128 v8, v[24:27]
	ds_store_b128 v8, v[0:3] offset:16
	ds_store_b128 v8, v[4:7] offset:32
	scratch_load_b32 v8, off, off offset:516 th:TH_LOAD_LU ; 4-byte Folded Reload
	v_fma_f64 v[2:3], v[73:74], -0.5, v[28:29]
	v_fma_f64 v[6:7], v[77:78], -0.5, v[30:31]
	s_delay_alu instid0(VALU_DEP_2) | instskip(SKIP_1) | instid1(VALU_DEP_3)
	v_fma_f64 v[0:1], v[75:76], s[14:15], v[2:3]
	v_fma_f64 v[4:5], v[75:76], s[12:13], v[2:3]
	v_fma_f64 v[2:3], v[79:80], s[12:13], v[6:7]
	v_fma_f64 v[6:7], v[79:80], s[14:15], v[6:7]
	s_wait_loadcnt 0x0
	ds_store_b128 v8, v[32:35]
	ds_store_b128 v8, v[0:3] offset:16
	ds_store_b128 v8, v[4:7] offset:32
	scratch_load_b32 v8, off, off offset:512 th:TH_LOAD_LU ; 4-byte Folded Reload
	v_fma_f64 v[2:3], v[81:82], -0.5, v[12:13]
	v_fma_f64 v[6:7], v[89:90], -0.5, v[14:15]
	s_delay_alu instid0(VALU_DEP_2) | instskip(SKIP_1) | instid1(VALU_DEP_3)
	v_fma_f64 v[0:1], v[83:84], s[14:15], v[2:3]
	v_fma_f64 v[4:5], v[83:84], s[12:13], v[2:3]
	v_fma_f64 v[2:3], v[104:105], s[12:13], v[6:7]
	v_fma_f64 v[6:7], v[104:105], s[14:15], v[6:7]
	s_wait_loadcnt 0x0
	ds_store_b128 v8, v[36:39]
	ds_store_b128 v8, v[0:3] offset:16
	ds_store_b128 v8, v[4:7] offset:32
	global_wb scope:SCOPE_SE
	s_wait_dscnt 0x0
	s_barrier_signal -1
	s_barrier_wait -1
	global_inv scope:SCOPE_SE
	ds_load_b128 v[0:3], v44 offset:10800
	ds_load_b128 v[4:7], v44 offset:8640
	s_wait_dscnt 0x1
	v_mul_f64_e32 v[8:9], v[242:243], v[2:3]
	s_delay_alu instid0(VALU_DEP_1) | instskip(SKIP_1) | instid1(VALU_DEP_1)
	v_fma_f64 v[16:17], v[240:241], v[0:1], v[8:9]
	v_mul_f64_e32 v[0:1], v[242:243], v[0:1]
	v_fma_f64 v[18:19], v[240:241], v[2:3], -v[0:1]
	ds_load_b128 v[0:3], v44 offset:21600
	ds_load_b128 v[8:11], v44 offset:23760
	s_wait_dscnt 0x1
	v_mul_f64_e32 v[12:13], v[238:239], v[2:3]
	s_delay_alu instid0(VALU_DEP_1) | instskip(SKIP_1) | instid1(VALU_DEP_1)
	v_fma_f64 v[20:21], v[236:237], v[0:1], v[12:13]
	v_mul_f64_e32 v[0:1], v[238:239], v[0:1]
	v_fma_f64 v[22:23], v[236:237], v[2:3], -v[0:1]
	;; [unrolled: 8-line block ×3, first 2 shown]
	v_mul_f64_e32 v[0:1], v[246:247], v[10:11]
	s_delay_alu instid0(VALU_DEP_1) | instskip(SKIP_1) | instid1(VALU_DEP_1)
	v_fma_f64 v[32:33], v[244:245], v[8:9], v[0:1]
	v_mul_f64_e32 v[0:1], v[246:247], v[8:9]
	v_fma_f64 v[34:35], v[244:245], v[10:11], -v[0:1]
	s_wait_dscnt 0x0
	v_mul_f64_e32 v[0:1], v[152:153], v[14:15]
	s_delay_alu instid0(VALU_DEP_1) | instskip(SKIP_1) | instid1(VALU_DEP_1)
	v_fma_f64 v[36:37], v[150:151], v[12:13], v[0:1]
	v_mul_f64_e32 v[0:1], v[152:153], v[12:13]
	v_fma_f64 v[38:39], v[150:151], v[14:15], -v[0:1]
	ds_load_b128 v[0:3], v44 offset:25920
	ds_load_b128 v[8:11], v44 offset:28080
	s_wait_dscnt 0x1
	v_mul_f64_e32 v[12:13], v[254:255], v[2:3]
	s_delay_alu instid0(VALU_DEP_1) | instskip(SKIP_1) | instid1(VALU_DEP_1)
	v_fma_f64 v[40:41], v[252:253], v[0:1], v[12:13]
	v_mul_f64_e32 v[0:1], v[254:255], v[0:1]
	v_fma_f64 v[42:43], v[252:253], v[2:3], -v[0:1]
	ds_load_b128 v[0:3], v44 offset:17280
	ds_load_b128 v[12:15], v44 offset:19440
	s_wait_dscnt 0x1
	v_mul_f64_e32 v[24:25], v[144:145], v[2:3]
	s_delay_alu instid0(VALU_DEP_1) | instskip(SKIP_1) | instid1(VALU_DEP_1)
	v_fma_f64 v[45:46], v[142:143], v[0:1], v[24:25]
	v_mul_f64_e32 v[0:1], v[144:145], v[0:1]
	v_fma_f64 v[47:48], v[142:143], v[2:3], -v[0:1]
	v_mul_f64_e32 v[0:1], v[148:149], v[10:11]
	s_delay_alu instid0(VALU_DEP_1) | instskip(SKIP_1) | instid1(VALU_DEP_1)
	v_fma_f64 v[49:50], v[146:147], v[8:9], v[0:1]
	v_mul_f64_e32 v[0:1], v[148:149], v[8:9]
	v_fma_f64 v[51:52], v[146:147], v[10:11], -v[0:1]
	s_wait_dscnt 0x0
	v_mul_f64_e32 v[0:1], v[136:137], v[14:15]
	s_delay_alu instid0(VALU_DEP_1) | instskip(SKIP_2) | instid1(VALU_DEP_2)
	v_fma_f64 v[53:54], v[134:135], v[12:13], v[0:1]
	v_mul_f64_e32 v[0:1], v[136:137], v[12:13]
	v_add_f64_e32 v[12:13], v[16:17], v[20:21]
	v_fma_f64 v[55:56], v[134:135], v[14:15], -v[0:1]
	ds_load_b128 v[0:3], v44 offset:30240
	s_wait_dscnt 0x0
	v_mul_f64_e32 v[8:9], v[140:141], v[2:3]
	s_delay_alu instid0(VALU_DEP_1) | instskip(SKIP_1) | instid1(VALU_DEP_1)
	v_fma_f64 v[57:58], v[138:139], v[0:1], v[8:9]
	v_mul_f64_e32 v[0:1], v[140:141], v[0:1]
	v_fma_f64 v[59:60], v[138:139], v[2:3], -v[0:1]
	ds_load_b128 v[0:3], v44
	ds_load_b128 v[8:11], v44 offset:2160
	s_wait_dscnt 0x1
	v_fma_f64 v[14:15], v[12:13], -0.5, v[0:1]
	v_add_f64_e32 v[12:13], v[18:19], v[22:23]
	v_add_f64_e32 v[0:1], v[0:1], v[16:17]
	s_delay_alu instid0(VALU_DEP_2) | instskip(SKIP_2) | instid1(VALU_DEP_4)
	v_fma_f64 v[24:25], v[12:13], -0.5, v[2:3]
	v_add_f64_e32 v[2:3], v[2:3], v[18:19]
	v_add_f64_e64 v[18:19], v[18:19], -v[22:23]
	v_add_f64_e32 v[0:1], v[0:1], v[20:21]
	v_add_f64_e64 v[20:21], v[16:17], -v[20:21]
	s_delay_alu instid0(VALU_DEP_4) | instskip(NEXT) | instid1(VALU_DEP_4)
	v_add_f64_e32 v[2:3], v[2:3], v[22:23]
	v_fma_f64 v[12:13], v[18:19], s[14:15], v[14:15]
	v_fma_f64 v[16:17], v[18:19], s[12:13], v[14:15]
	s_delay_alu instid0(VALU_DEP_4)
	v_fma_f64 v[14:15], v[20:21], s[12:13], v[24:25]
	v_fma_f64 v[18:19], v[20:21], s[14:15], v[24:25]
	ds_load_b128 v[20:23], v44 offset:4320
	ds_load_b128 v[24:27], v44 offset:6480
	global_wb scope:SCOPE_SE
	s_wait_dscnt 0x0
	s_barrier_signal -1
	s_barrier_wait -1
	global_inv scope:SCOPE_SE
	scratch_load_b32 v61, off, off offset:508 th:TH_LOAD_LU ; 4-byte Folded Reload
	s_wait_loadcnt 0x0
	ds_store_b128 v61, v[0:3]
	ds_store_b128 v61, v[12:15] offset:48
	ds_store_b128 v61, v[16:19] offset:96
	v_add_f64_e32 v[0:1], v[28:29], v[32:33]
	v_add_f64_e64 v[16:17], v[28:29], -v[32:33]
	s_delay_alu instid0(VALU_DEP_2) | instskip(SKIP_2) | instid1(VALU_DEP_2)
	v_fma_f64 v[12:13], v[0:1], -0.5, v[8:9]
	v_add_f64_e32 v[0:1], v[30:31], v[34:35]
	v_add_f64_e32 v[8:9], v[8:9], v[28:29]
	v_fma_f64 v[14:15], v[0:1], -0.5, v[10:11]
	v_add_f64_e32 v[0:1], v[10:11], v[30:31]
	v_add_f64_e64 v[10:11], v[30:31], -v[34:35]
	s_delay_alu instid0(VALU_DEP_2) | instskip(SKIP_1) | instid1(VALU_DEP_3)
	v_add_f64_e32 v[2:3], v[0:1], v[34:35]
	v_add_f64_e32 v[0:1], v[8:9], v[32:33]
	v_fma_f64 v[8:9], v[10:11], s[14:15], v[12:13]
	v_fma_f64 v[12:13], v[10:11], s[12:13], v[12:13]
	;; [unrolled: 1-line block ×4, first 2 shown]
	scratch_load_b32 v16, off, off offset:504 th:TH_LOAD_LU ; 4-byte Folded Reload
	s_wait_loadcnt 0x0
	ds_store_b128 v16, v[0:3]
	ds_store_b128 v16, v[8:11] offset:48
	ds_store_b128 v16, v[12:15] offset:96
	v_add_f64_e32 v[0:1], v[36:37], v[40:41]
	v_add_f64_e32 v[8:9], v[20:21], v[36:37]
	v_add_f64_e64 v[12:13], v[38:39], -v[42:43]
	v_add_f64_e64 v[16:17], v[36:37], -v[40:41]
	s_delay_alu instid0(VALU_DEP_4) | instskip(SKIP_1) | instid1(VALU_DEP_1)
	v_fma_f64 v[10:11], v[0:1], -0.5, v[20:21]
	v_add_f64_e32 v[0:1], v[38:39], v[42:43]
	v_fma_f64 v[14:15], v[0:1], -0.5, v[22:23]
	v_add_f64_e32 v[0:1], v[22:23], v[38:39]
	s_delay_alu instid0(VALU_DEP_1)
	v_add_f64_e32 v[2:3], v[0:1], v[42:43]
	v_add_f64_e32 v[0:1], v[8:9], v[40:41]
	v_fma_f64 v[8:9], v[12:13], s[14:15], v[10:11]
	v_fma_f64 v[12:13], v[12:13], s[12:13], v[10:11]
	;; [unrolled: 1-line block ×4, first 2 shown]
	scratch_load_b32 v16, off, off offset:500 th:TH_LOAD_LU ; 4-byte Folded Reload
	s_wait_loadcnt 0x0
	ds_store_b128 v16, v[0:3]
	ds_store_b128 v16, v[8:11] offset:48
	ds_store_b128 v16, v[12:15] offset:96
	v_add_f64_e32 v[0:1], v[45:46], v[49:50]
	v_add_f64_e32 v[8:9], v[24:25], v[45:46]
	v_add_f64_e64 v[12:13], v[47:48], -v[51:52]
	v_add_f64_e64 v[16:17], v[45:46], -v[49:50]
	s_delay_alu instid0(VALU_DEP_4) | instskip(SKIP_1) | instid1(VALU_DEP_1)
	v_fma_f64 v[10:11], v[0:1], -0.5, v[24:25]
	v_add_f64_e32 v[0:1], v[47:48], v[51:52]
	v_fma_f64 v[14:15], v[0:1], -0.5, v[26:27]
	v_add_f64_e32 v[0:1], v[26:27], v[47:48]
	s_delay_alu instid0(VALU_DEP_1)
	v_add_f64_e32 v[2:3], v[0:1], v[51:52]
	v_add_f64_e32 v[0:1], v[8:9], v[49:50]
	v_fma_f64 v[8:9], v[12:13], s[14:15], v[10:11]
	v_fma_f64 v[12:13], v[12:13], s[12:13], v[10:11]
	;; [unrolled: 1-line block ×4, first 2 shown]
	scratch_load_b32 v16, off, off offset:496 th:TH_LOAD_LU ; 4-byte Folded Reload
	s_wait_loadcnt 0x0
	ds_store_b128 v16, v[0:3]
	ds_store_b128 v16, v[8:11] offset:48
	ds_store_b128 v16, v[12:15] offset:96
	v_add_f64_e32 v[0:1], v[53:54], v[57:58]
	v_add_f64_e64 v[12:13], v[53:54], -v[57:58]
	s_delay_alu instid0(VALU_DEP_2) | instskip(SKIP_2) | instid1(VALU_DEP_2)
	v_fma_f64 v[8:9], v[0:1], -0.5, v[4:5]
	v_add_f64_e32 v[0:1], v[55:56], v[59:60]
	v_add_f64_e32 v[4:5], v[4:5], v[53:54]
	v_fma_f64 v[10:11], v[0:1], -0.5, v[6:7]
	v_add_f64_e32 v[0:1], v[6:7], v[55:56]
	v_add_f64_e64 v[6:7], v[55:56], -v[59:60]
	s_delay_alu instid0(VALU_DEP_2) | instskip(SKIP_1) | instid1(VALU_DEP_3)
	v_add_f64_e32 v[2:3], v[0:1], v[59:60]
	v_add_f64_e32 v[0:1], v[4:5], v[57:58]
	v_fma_f64 v[4:5], v[6:7], s[14:15], v[8:9]
	v_fma_f64 v[8:9], v[6:7], s[12:13], v[8:9]
	;; [unrolled: 1-line block ×4, first 2 shown]
	scratch_load_b32 v12, off, off offset:492 th:TH_LOAD_LU ; 4-byte Folded Reload
	s_wait_loadcnt 0x0
	ds_store_b128 v12, v[0:3]
	ds_store_b128 v12, v[4:7] offset:48
	ds_store_b128 v12, v[8:11] offset:96
	global_wb scope:SCOPE_SE
	s_wait_dscnt 0x0
	s_barrier_signal -1
	s_barrier_wait -1
	global_inv scope:SCOPE_SE
	ds_load_b128 v[0:3], v44 offset:6480
	ds_load_b128 v[4:7], v44 offset:4320
	s_wait_dscnt 0x1
	v_mul_f64_e32 v[8:9], v[198:199], v[2:3]
	s_delay_alu instid0(VALU_DEP_1) | instskip(SKIP_1) | instid1(VALU_DEP_1)
	v_fma_f64 v[24:25], v[196:197], v[0:1], v[8:9]
	v_mul_f64_e32 v[0:1], v[198:199], v[0:1]
	v_fma_f64 v[26:27], v[196:197], v[2:3], -v[0:1]
	ds_load_b128 v[0:3], v44 offset:12960
	ds_load_b128 v[8:11], v44 offset:15120
	s_wait_dscnt 0x1
	v_mul_f64_e32 v[12:13], v[190:191], v[2:3]
	s_delay_alu instid0(VALU_DEP_1) | instskip(SKIP_1) | instid1(VALU_DEP_1)
	v_fma_f64 v[28:29], v[188:189], v[0:1], v[12:13]
	v_mul_f64_e32 v[0:1], v[190:191], v[0:1]
	v_fma_f64 v[30:31], v[188:189], v[2:3], -v[0:1]
	ds_load_b128 v[0:3], v44 offset:19440
	ds_load_b128 v[12:15], v44 offset:17280
	s_wait_dscnt 0x1
	v_mul_f64_e32 v[16:17], v[202:203], v[2:3]
	s_delay_alu instid0(VALU_DEP_1) | instskip(SKIP_1) | instid1(VALU_DEP_2)
	v_fma_f64 v[32:33], v[200:201], v[0:1], v[16:17]
	v_mul_f64_e32 v[0:1], v[202:203], v[0:1]
	v_add_f64_e64 v[77:78], v[28:29], -v[32:33]
	s_delay_alu instid0(VALU_DEP_2)
	v_fma_f64 v[34:35], v[200:201], v[2:3], -v[0:1]
	ds_load_b128 v[0:3], v44 offset:25920
	ds_load_b128 v[16:19], v44 offset:28080
	s_wait_dscnt 0x1
	v_mul_f64_e32 v[20:21], v[194:195], v[2:3]
	v_add_f64_e64 v[73:74], v[30:31], -v[34:35]
	s_delay_alu instid0(VALU_DEP_2) | instskip(SKIP_1) | instid1(VALU_DEP_2)
	v_fma_f64 v[36:37], v[192:193], v[0:1], v[20:21]
	v_mul_f64_e32 v[0:1], v[194:195], v[0:1]
	v_add_f64_e64 v[79:80], v[24:25], -v[36:37]
	s_delay_alu instid0(VALU_DEP_2)
	v_fma_f64 v[38:39], v[192:193], v[2:3], -v[0:1]
	ds_load_b128 v[0:3], v44 offset:8640
	ds_load_b128 v[20:23], v44 offset:10800
	s_wait_dscnt 0x1
	v_mul_f64_e32 v[40:41], v[214:215], v[2:3]
	v_add_f64_e64 v[75:76], v[26:27], -v[38:39]
	s_delay_alu instid0(VALU_DEP_2) | instskip(SKIP_1) | instid1(VALU_DEP_1)
	v_fma_f64 v[40:41], v[212:213], v[0:1], v[40:41]
	v_mul_f64_e32 v[0:1], v[214:215], v[0:1]
	v_fma_f64 v[42:43], v[212:213], v[2:3], -v[0:1]
	v_mul_f64_e32 v[0:1], v[206:207], v[10:11]
	s_delay_alu instid0(VALU_DEP_1) | instskip(SKIP_1) | instid1(VALU_DEP_1)
	v_fma_f64 v[45:46], v[204:205], v[8:9], v[0:1]
	v_mul_f64_e32 v[0:1], v[206:207], v[8:9]
	v_fma_f64 v[47:48], v[204:205], v[10:11], -v[0:1]
	ds_load_b128 v[0:3], v44 offset:21600
	ds_load_b128 v[8:11], v44 offset:23760
	s_wait_dscnt 0x1
	v_mul_f64_e32 v[49:50], v[218:219], v[2:3]
	s_delay_alu instid0(VALU_DEP_1) | instskip(SKIP_1) | instid1(VALU_DEP_1)
	v_fma_f64 v[49:50], v[216:217], v[0:1], v[49:50]
	v_mul_f64_e32 v[0:1], v[218:219], v[0:1]
	v_fma_f64 v[51:52], v[216:217], v[2:3], -v[0:1]
	v_mul_f64_e32 v[0:1], v[210:211], v[18:19]
	s_delay_alu instid0(VALU_DEP_1) | instskip(SKIP_1) | instid1(VALU_DEP_1)
	v_fma_f64 v[53:54], v[208:209], v[16:17], v[0:1]
	v_mul_f64_e32 v[0:1], v[210:211], v[16:17]
	v_fma_f64 v[55:56], v[208:209], v[18:19], -v[0:1]
	;; [unrolled: 5-line block ×3, first 2 shown]
	v_mul_f64_e32 v[0:1], v[222:223], v[14:15]
	s_delay_alu instid0(VALU_DEP_1) | instskip(SKIP_2) | instid1(VALU_DEP_2)
	v_fma_f64 v[61:62], v[220:221], v[12:13], v[0:1]
	v_mul_f64_e32 v[0:1], v[222:223], v[12:13]
	v_add_f64_e32 v[12:13], v[24:25], v[36:37]
	v_fma_f64 v[63:64], v[220:221], v[14:15], -v[0:1]
	s_wait_dscnt 0x0
	v_mul_f64_e32 v[0:1], v[234:235], v[10:11]
	s_delay_alu instid0(VALU_DEP_1) | instskip(SKIP_1) | instid1(VALU_DEP_1)
	v_fma_f64 v[65:66], v[232:233], v[8:9], v[0:1]
	v_mul_f64_e32 v[0:1], v[234:235], v[8:9]
	v_fma_f64 v[67:68], v[232:233], v[10:11], -v[0:1]
	ds_load_b128 v[0:3], v44 offset:30240
	s_wait_dscnt 0x0
	v_mul_f64_e32 v[8:9], v[226:227], v[2:3]
	s_delay_alu instid0(VALU_DEP_1) | instskip(SKIP_1) | instid1(VALU_DEP_1)
	v_fma_f64 v[69:70], v[224:225], v[0:1], v[8:9]
	v_mul_f64_e32 v[0:1], v[226:227], v[0:1]
	v_fma_f64 v[71:72], v[224:225], v[2:3], -v[0:1]
	v_add_f64_e64 v[0:1], v[28:29], -v[24:25]
	v_add_f64_e64 v[2:3], v[32:33], -v[36:37]
	s_delay_alu instid0(VALU_DEP_1) | instskip(SKIP_2) | instid1(VALU_DEP_1)
	v_add_f64_e32 v[16:17], v[0:1], v[2:3]
	v_add_f64_e64 v[0:1], v[30:31], -v[26:27]
	v_add_f64_e64 v[2:3], v[34:35], -v[38:39]
	v_add_f64_e32 v[18:19], v[0:1], v[2:3]
	ds_load_b128 v[0:3], v44
	ds_load_b128 v[8:11], v44 offset:2160
	global_wb scope:SCOPE_SE
	s_wait_dscnt 0x0
	s_barrier_signal -1
	s_barrier_wait -1
	global_inv scope:SCOPE_SE
	v_fma_f64 v[20:21], v[12:13], -0.5, v[0:1]
	v_add_f64_e32 v[12:13], v[26:27], v[38:39]
	s_delay_alu instid0(VALU_DEP_1) | instskip(NEXT) | instid1(VALU_DEP_3)
	v_fma_f64 v[22:23], v[12:13], -0.5, v[2:3]
	v_fma_f64 v[12:13], v[73:74], s[20:21], v[20:21]
	v_fma_f64 v[20:21], v[73:74], s[22:23], v[20:21]
	s_delay_alu instid0(VALU_DEP_3) | instskip(NEXT) | instid1(VALU_DEP_3)
	v_fma_f64 v[14:15], v[77:78], s[22:23], v[22:23]
	v_fma_f64 v[12:13], v[75:76], s[18:19], v[12:13]
	s_delay_alu instid0(VALU_DEP_3) | instskip(SKIP_1) | instid1(VALU_DEP_4)
	v_fma_f64 v[20:21], v[75:76], s[16:17], v[20:21]
	v_fma_f64 v[22:23], v[77:78], s[20:21], v[22:23]
	v_fma_f64 v[14:15], v[79:80], s[16:17], v[14:15]
	s_delay_alu instid0(VALU_DEP_4) | instskip(NEXT) | instid1(VALU_DEP_4)
	v_fma_f64 v[12:13], v[16:17], s[24:25], v[12:13]
	v_fma_f64 v[16:17], v[16:17], s[24:25], v[20:21]
	v_add_f64_e32 v[20:21], v[28:29], v[32:33]
	v_fma_f64 v[22:23], v[79:80], s[18:19], v[22:23]
	v_fma_f64 v[14:15], v[18:19], s[24:25], v[14:15]
	s_delay_alu instid0(VALU_DEP_3) | instskip(SKIP_1) | instid1(VALU_DEP_4)
	v_fma_f64 v[20:21], v[20:21], -0.5, v[0:1]
	v_add_f64_e32 v[0:1], v[0:1], v[24:25]
	v_fma_f64 v[18:19], v[18:19], s[24:25], v[22:23]
	v_add_f64_e32 v[22:23], v[30:31], v[34:35]
	v_add_f64_e64 v[24:25], v[24:25], -v[28:29]
	s_delay_alu instid0(VALU_DEP_4) | instskip(SKIP_1) | instid1(VALU_DEP_4)
	v_add_f64_e32 v[0:1], v[0:1], v[28:29]
	v_add_f64_e64 v[28:29], v[36:37], -v[32:33]
	v_fma_f64 v[22:23], v[22:23], -0.5, v[2:3]
	v_add_f64_e32 v[2:3], v[2:3], v[26:27]
	v_add_f64_e64 v[26:27], v[26:27], -v[30:31]
	v_add_f64_e32 v[0:1], v[0:1], v[32:33]
	v_fma_f64 v[32:33], v[75:76], s[22:23], v[20:21]
	v_fma_f64 v[20:21], v[75:76], s[20:21], v[20:21]
	v_add_f64_e32 v[2:3], v[2:3], v[30:31]
	v_add_f64_e64 v[30:31], v[38:39], -v[34:35]
	v_add_f64_e32 v[24:25], v[24:25], v[28:29]
	v_add_f64_e32 v[0:1], v[0:1], v[36:37]
	v_fma_f64 v[28:29], v[73:74], s[18:19], v[32:33]
	v_add_f64_e32 v[2:3], v[2:3], v[34:35]
	v_add_f64_e32 v[26:27], v[26:27], v[30:31]
	v_fma_f64 v[30:31], v[73:74], s[16:17], v[20:21]
	v_fma_f64 v[34:35], v[79:80], s[20:21], v[22:23]
	;; [unrolled: 1-line block ×4, first 2 shown]
	scratch_load_b32 v28, off, off offset:488 th:TH_LOAD_LU ; 4-byte Folded Reload
	v_add_f64_e32 v[2:3], v[2:3], v[38:39]
	v_fma_f64 v[24:25], v[24:25], s[24:25], v[30:31]
	v_fma_f64 v[32:33], v[77:78], s[16:17], v[34:35]
	;; [unrolled: 1-line block ×3, first 2 shown]
	v_add_f64_e64 v[30:31], v[42:43], -v[47:48]
	s_delay_alu instid0(VALU_DEP_3) | instskip(NEXT) | instid1(VALU_DEP_3)
	v_fma_f64 v[22:23], v[26:27], s[24:25], v[32:33]
	v_fma_f64 v[26:27], v[26:27], s[24:25], v[34:35]
	s_wait_loadcnt 0x0
	ds_store_b128 v28, v[0:3]
	ds_store_b128 v28, v[20:23] offset:144
	ds_store_b128 v28, v[12:15] offset:288
	ds_store_b128 v28, v[16:19] offset:432
	ds_store_b128 v28, v[24:27] offset:576
	v_add_f64_e64 v[0:1], v[45:46], -v[40:41]
	v_add_f64_e64 v[2:3], v[49:50], -v[53:54]
	;; [unrolled: 1-line block ×9, first 2 shown]
	v_add_f64_e32 v[12:13], v[0:1], v[2:3]
	v_add_f64_e64 v[0:1], v[47:48], -v[42:43]
	v_add_f64_e64 v[2:3], v[51:52], -v[55:56]
	s_delay_alu instid0(VALU_DEP_1) | instskip(SKIP_1) | instid1(VALU_DEP_1)
	v_add_f64_e32 v[14:15], v[0:1], v[2:3]
	v_add_f64_e32 v[0:1], v[40:41], v[53:54]
	v_fma_f64 v[16:17], v[0:1], -0.5, v[8:9]
	v_add_f64_e32 v[0:1], v[42:43], v[55:56]
	s_delay_alu instid0(VALU_DEP_1) | instskip(NEXT) | instid1(VALU_DEP_3)
	v_fma_f64 v[18:19], v[0:1], -0.5, v[10:11]
	v_fma_f64 v[0:1], v[20:21], s[20:21], v[16:17]
	v_fma_f64 v[16:17], v[20:21], s[22:23], v[16:17]
	s_delay_alu instid0(VALU_DEP_3) | instskip(SKIP_1) | instid1(VALU_DEP_4)
	v_fma_f64 v[2:3], v[24:25], s[22:23], v[18:19]
	v_fma_f64 v[18:19], v[24:25], s[20:21], v[18:19]
	;; [unrolled: 1-line block ×3, first 2 shown]
	s_delay_alu instid0(VALU_DEP_4) | instskip(NEXT) | instid1(VALU_DEP_4)
	v_fma_f64 v[16:17], v[22:23], s[16:17], v[16:17]
	v_fma_f64 v[2:3], v[26:27], s[16:17], v[2:3]
	s_delay_alu instid0(VALU_DEP_4) | instskip(NEXT) | instid1(VALU_DEP_4)
	v_fma_f64 v[18:19], v[26:27], s[18:19], v[18:19]
	v_fma_f64 v[0:1], v[12:13], s[24:25], v[0:1]
	s_delay_alu instid0(VALU_DEP_4) | instskip(SKIP_4) | instid1(VALU_DEP_4)
	v_fma_f64 v[12:13], v[12:13], s[24:25], v[16:17]
	v_add_f64_e32 v[16:17], v[45:46], v[49:50]
	v_fma_f64 v[2:3], v[14:15], s[24:25], v[2:3]
	v_fma_f64 v[14:15], v[14:15], s[24:25], v[18:19]
	v_add_f64_e32 v[18:19], v[47:48], v[51:52]
	v_fma_f64 v[16:17], v[16:17], -0.5, v[8:9]
	v_add_f64_e32 v[8:9], v[8:9], v[40:41]
	s_delay_alu instid0(VALU_DEP_3) | instskip(SKIP_1) | instid1(VALU_DEP_4)
	v_fma_f64 v[18:19], v[18:19], -0.5, v[10:11]
	v_add_f64_e32 v[10:11], v[10:11], v[42:43]
	v_fma_f64 v[36:37], v[22:23], s[22:23], v[16:17]
	v_fma_f64 v[16:17], v[22:23], s[20:21], v[16:17]
	v_add_f64_e32 v[8:9], v[8:9], v[45:46]
	v_fma_f64 v[22:23], v[26:27], s[20:21], v[18:19]
	v_fma_f64 v[18:19], v[26:27], s[22:23], v[18:19]
	v_add_f64_e32 v[26:27], v[28:29], v[32:33]
	v_add_f64_e32 v[28:29], v[30:31], v[34:35]
	;; [unrolled: 1-line block ×4, first 2 shown]
	v_fma_f64 v[30:31], v[20:21], s[18:19], v[36:37]
	v_fma_f64 v[20:21], v[20:21], s[16:17], v[16:17]
	v_fma_f64 v[22:23], v[24:25], s[16:17], v[22:23]
	v_fma_f64 v[24:25], v[24:25], s[18:19], v[18:19]
	v_add_f64_e32 v[10:11], v[10:11], v[51:52]
	v_add_f64_e32 v[8:9], v[8:9], v[53:54]
	v_fma_f64 v[16:17], v[26:27], s[24:25], v[30:31]
	v_fma_f64 v[20:21], v[26:27], s[24:25], v[20:21]
	v_add_f64_e64 v[26:27], v[59:60], -v[63:64]
	v_add_f64_e64 v[30:31], v[71:72], -v[67:68]
	v_fma_f64 v[18:19], v[28:29], s[24:25], v[22:23]
	v_fma_f64 v[22:23], v[28:29], s[24:25], v[24:25]
	scratch_load_b32 v24, off, off offset:484 th:TH_LOAD_LU ; 4-byte Folded Reload
	v_add_f64_e64 v[28:29], v[69:70], -v[65:66]
	v_add_f64_e32 v[10:11], v[10:11], v[55:56]
	s_wait_loadcnt 0x0
	ds_store_b128 v24, v[8:11]
	ds_store_b128 v24, v[16:19] offset:144
	ds_store_b128 v24, v[0:3] offset:288
	;; [unrolled: 1-line block ×4, first 2 shown]
	v_add_f64_e64 v[0:1], v[61:62], -v[57:58]
	v_add_f64_e64 v[2:3], v[65:66], -v[69:70]
	;; [unrolled: 1-line block ×7, first 2 shown]
	v_add_f64_e32 v[8:9], v[0:1], v[2:3]
	v_add_f64_e64 v[0:1], v[63:64], -v[59:60]
	v_add_f64_e64 v[2:3], v[67:68], -v[71:72]
	s_delay_alu instid0(VALU_DEP_1) | instskip(SKIP_1) | instid1(VALU_DEP_1)
	v_add_f64_e32 v[10:11], v[0:1], v[2:3]
	v_add_f64_e32 v[0:1], v[57:58], v[69:70]
	v_fma_f64 v[12:13], v[0:1], -0.5, v[4:5]
	v_add_f64_e32 v[0:1], v[59:60], v[71:72]
	s_delay_alu instid0(VALU_DEP_1) | instskip(NEXT) | instid1(VALU_DEP_3)
	v_fma_f64 v[14:15], v[0:1], -0.5, v[6:7]
	v_fma_f64 v[0:1], v[16:17], s[20:21], v[12:13]
	v_fma_f64 v[12:13], v[16:17], s[22:23], v[12:13]
	s_delay_alu instid0(VALU_DEP_3) | instskip(SKIP_1) | instid1(VALU_DEP_4)
	v_fma_f64 v[2:3], v[20:21], s[22:23], v[14:15]
	v_fma_f64 v[14:15], v[20:21], s[20:21], v[14:15]
	;; [unrolled: 1-line block ×3, first 2 shown]
	s_delay_alu instid0(VALU_DEP_4) | instskip(NEXT) | instid1(VALU_DEP_4)
	v_fma_f64 v[12:13], v[18:19], s[16:17], v[12:13]
	v_fma_f64 v[2:3], v[22:23], s[16:17], v[2:3]
	s_delay_alu instid0(VALU_DEP_4) | instskip(NEXT) | instid1(VALU_DEP_4)
	v_fma_f64 v[14:15], v[22:23], s[18:19], v[14:15]
	v_fma_f64 v[0:1], v[8:9], s[24:25], v[0:1]
	s_delay_alu instid0(VALU_DEP_4) | instskip(SKIP_4) | instid1(VALU_DEP_4)
	v_fma_f64 v[8:9], v[8:9], s[24:25], v[12:13]
	v_add_f64_e32 v[12:13], v[61:62], v[65:66]
	v_fma_f64 v[2:3], v[10:11], s[24:25], v[2:3]
	v_fma_f64 v[10:11], v[10:11], s[24:25], v[14:15]
	v_add_f64_e32 v[14:15], v[63:64], v[67:68]
	v_fma_f64 v[12:13], v[12:13], -0.5, v[4:5]
	v_add_f64_e32 v[4:5], v[4:5], v[57:58]
	s_delay_alu instid0(VALU_DEP_3) | instskip(SKIP_1) | instid1(VALU_DEP_4)
	v_fma_f64 v[14:15], v[14:15], -0.5, v[6:7]
	v_add_f64_e32 v[6:7], v[6:7], v[59:60]
	v_fma_f64 v[32:33], v[18:19], s[22:23], v[12:13]
	v_fma_f64 v[12:13], v[18:19], s[20:21], v[12:13]
	v_add_f64_e32 v[4:5], v[4:5], v[61:62]
	v_fma_f64 v[18:19], v[22:23], s[20:21], v[14:15]
	v_fma_f64 v[14:15], v[22:23], s[22:23], v[14:15]
	v_add_f64_e32 v[22:23], v[24:25], v[28:29]
	v_add_f64_e32 v[24:25], v[26:27], v[30:31]
	;; [unrolled: 1-line block ×4, first 2 shown]
	v_fma_f64 v[26:27], v[16:17], s[18:19], v[32:33]
	v_fma_f64 v[16:17], v[16:17], s[16:17], v[12:13]
	;; [unrolled: 1-line block ×4, first 2 shown]
	v_add_f64_e32 v[6:7], v[6:7], v[67:68]
	v_add_f64_e32 v[4:5], v[4:5], v[69:70]
	v_fma_f64 v[12:13], v[22:23], s[24:25], v[26:27]
	v_fma_f64 v[16:17], v[22:23], s[24:25], v[16:17]
	;; [unrolled: 1-line block ×4, first 2 shown]
	scratch_load_b32 v20, off, off offset:480 th:TH_LOAD_LU ; 4-byte Folded Reload
	v_add_f64_e32 v[6:7], v[6:7], v[71:72]
	s_wait_loadcnt 0x0
	ds_store_b128 v20, v[4:7]
	ds_store_b128 v20, v[12:15] offset:144
	ds_store_b128 v20, v[0:3] offset:288
	;; [unrolled: 1-line block ×4, first 2 shown]
	global_wb scope:SCOPE_SE
	s_wait_dscnt 0x0
	s_barrier_signal -1
	s_barrier_wait -1
	global_inv scope:SCOPE_SE
	ds_load_b128 v[1:4], v44 offset:6480
	ds_load_b128 v[5:8], v44 offset:4320
	scratch_load_b128 v[11:14], off, off offset:428 th:TH_LOAD_LU ; 16-byte Folded Reload
	s_wait_loadcnt_dscnt 0x1
	v_mul_f64_e32 v[9:10], v[13:14], v[3:4]
	s_delay_alu instid0(VALU_DEP_1) | instskip(SKIP_1) | instid1(VALU_DEP_1)
	v_fma_f64 v[25:26], v[11:12], v[1:2], v[9:10]
	v_mul_f64_e32 v[0:1], v[13:14], v[1:2]
	v_fma_f64 v[27:28], v[11:12], v[3:4], -v[0:1]
	ds_load_b128 v[0:3], v44 offset:12960
	ds_load_b128 v[9:12], v44 offset:15120
	scratch_load_b128 v[15:18], off, off offset:412 th:TH_LOAD_LU ; 16-byte Folded Reload
	s_wait_loadcnt_dscnt 0x1
	v_mul_f64_e32 v[13:14], v[17:18], v[2:3]
	s_delay_alu instid0(VALU_DEP_1) | instskip(SKIP_1) | instid1(VALU_DEP_1)
	v_fma_f64 v[29:30], v[15:16], v[0:1], v[13:14]
	v_mul_f64_e32 v[0:1], v[17:18], v[0:1]
	v_fma_f64 v[31:32], v[15:16], v[2:3], -v[0:1]
	ds_load_b128 v[0:3], v44 offset:19440
	ds_load_b128 v[13:16], v44 offset:17280
	scratch_load_b128 v[19:22], off, off offset:460 th:TH_LOAD_LU ; 16-byte Folded Reload
	s_wait_loadcnt_dscnt 0x1
	v_mul_f64_e32 v[17:18], v[21:22], v[2:3]
	s_delay_alu instid0(VALU_DEP_1) | instskip(SKIP_1) | instid1(VALU_DEP_2)
	v_fma_f64 v[33:34], v[19:20], v[0:1], v[17:18]
	v_mul_f64_e32 v[0:1], v[21:22], v[0:1]
	v_add_f64_e64 v[79:80], v[29:30], -v[33:34]
	s_delay_alu instid0(VALU_DEP_2)
	v_fma_f64 v[35:36], v[19:20], v[2:3], -v[0:1]
	ds_load_b128 v[0:3], v44 offset:25920
	ds_load_b128 v[17:20], v44 offset:28080
	scratch_load_b128 v[39:42], off, off offset:444 th:TH_LOAD_LU ; 16-byte Folded Reload
	v_add_f64_e64 v[75:76], v[31:32], -v[35:36]
	s_wait_loadcnt_dscnt 0x1
	v_mul_f64_e32 v[21:22], v[41:42], v[2:3]
	s_delay_alu instid0(VALU_DEP_1) | instskip(SKIP_1) | instid1(VALU_DEP_2)
	v_fma_f64 v[37:38], v[39:40], v[0:1], v[21:22]
	v_mul_f64_e32 v[0:1], v[41:42], v[0:1]
	v_add_f64_e64 v[81:82], v[25:26], -v[37:38]
	s_delay_alu instid0(VALU_DEP_2)
	v_fma_f64 v[39:40], v[39:40], v[2:3], -v[0:1]
	ds_load_b128 v[0:3], v44 offset:8640
	ds_load_b128 v[21:24], v44 offset:10800
	s_wait_dscnt 0x1
	v_mul_f64_e32 v[41:42], v[166:167], v[2:3]
	v_add_f64_e64 v[77:78], v[27:28], -v[39:40]
	s_delay_alu instid0(VALU_DEP_2) | instskip(SKIP_1) | instid1(VALU_DEP_1)
	v_fma_f64 v[41:42], v[164:165], v[0:1], v[41:42]
	v_mul_f64_e32 v[0:1], v[166:167], v[0:1]
	v_fma_f64 v[45:46], v[164:165], v[2:3], -v[0:1]
	v_mul_f64_e32 v[0:1], v[158:159], v[11:12]
	s_delay_alu instid0(VALU_DEP_1) | instskip(SKIP_1) | instid1(VALU_DEP_1)
	v_fma_f64 v[47:48], v[156:157], v[9:10], v[0:1]
	v_mul_f64_e32 v[0:1], v[158:159], v[9:10]
	v_fma_f64 v[49:50], v[156:157], v[11:12], -v[0:1]
	ds_load_b128 v[0:3], v44 offset:21600
	ds_load_b128 v[9:12], v44 offset:23760
	s_wait_dscnt 0x1
	v_mul_f64_e32 v[51:52], v[170:171], v[2:3]
	s_delay_alu instid0(VALU_DEP_1) | instskip(SKIP_1) | instid1(VALU_DEP_1)
	v_fma_f64 v[51:52], v[168:169], v[0:1], v[51:52]
	v_mul_f64_e32 v[0:1], v[170:171], v[0:1]
	v_fma_f64 v[53:54], v[168:169], v[2:3], -v[0:1]
	v_mul_f64_e32 v[0:1], v[162:163], v[19:20]
	s_delay_alu instid0(VALU_DEP_1) | instskip(SKIP_1) | instid1(VALU_DEP_1)
	v_fma_f64 v[55:56], v[160:161], v[17:18], v[0:1]
	v_mul_f64_e32 v[0:1], v[162:163], v[17:18]
	v_fma_f64 v[57:58], v[160:161], v[19:20], -v[0:1]
	;; [unrolled: 5-line block ×3, first 2 shown]
	v_mul_f64_e32 v[0:1], v[174:175], v[15:16]
	s_delay_alu instid0(VALU_DEP_1) | instskip(SKIP_2) | instid1(VALU_DEP_2)
	v_fma_f64 v[63:64], v[172:173], v[13:14], v[0:1]
	v_mul_f64_e32 v[0:1], v[174:175], v[13:14]
	v_add_f64_e32 v[13:14], v[25:26], v[37:38]
	v_fma_f64 v[65:66], v[172:173], v[15:16], -v[0:1]
	s_wait_dscnt 0x0
	v_mul_f64_e32 v[0:1], v[186:187], v[11:12]
	s_delay_alu instid0(VALU_DEP_1) | instskip(SKIP_1) | instid1(VALU_DEP_1)
	v_fma_f64 v[67:68], v[184:185], v[9:10], v[0:1]
	v_mul_f64_e32 v[0:1], v[186:187], v[9:10]
	v_fma_f64 v[69:70], v[184:185], v[11:12], -v[0:1]
	ds_load_b128 v[0:3], v44 offset:30240
	s_wait_dscnt 0x0
	v_mul_f64_e32 v[9:10], v[178:179], v[2:3]
	s_delay_alu instid0(VALU_DEP_1) | instskip(SKIP_1) | instid1(VALU_DEP_1)
	v_fma_f64 v[71:72], v[176:177], v[0:1], v[9:10]
	v_mul_f64_e32 v[0:1], v[178:179], v[0:1]
	v_fma_f64 v[73:74], v[176:177], v[2:3], -v[0:1]
	v_add_f64_e64 v[0:1], v[29:30], -v[25:26]
	v_add_f64_e64 v[2:3], v[33:34], -v[37:38]
	s_delay_alu instid0(VALU_DEP_1) | instskip(SKIP_2) | instid1(VALU_DEP_1)
	v_add_f64_e32 v[17:18], v[0:1], v[2:3]
	v_add_f64_e64 v[0:1], v[31:32], -v[27:28]
	v_add_f64_e64 v[2:3], v[35:36], -v[39:40]
	v_add_f64_e32 v[19:20], v[0:1], v[2:3]
	ds_load_b128 v[0:3], v44
	ds_load_b128 v[9:12], v44 offset:2160
	global_wb scope:SCOPE_SE
	s_wait_dscnt 0x0
	s_barrier_signal -1
	s_barrier_wait -1
	global_inv scope:SCOPE_SE
	scratch_load_b32 v4, off, off offset:476 th:TH_LOAD_LU ; 4-byte Folded Reload
	v_fma_f64 v[21:22], v[13:14], -0.5, v[0:1]
	v_add_f64_e32 v[13:14], v[27:28], v[39:40]
	s_delay_alu instid0(VALU_DEP_1) | instskip(NEXT) | instid1(VALU_DEP_3)
	v_fma_f64 v[23:24], v[13:14], -0.5, v[2:3]
	v_fma_f64 v[13:14], v[75:76], s[20:21], v[21:22]
	v_fma_f64 v[21:22], v[75:76], s[22:23], v[21:22]
	s_delay_alu instid0(VALU_DEP_3) | instskip(SKIP_1) | instid1(VALU_DEP_4)
	v_fma_f64 v[15:16], v[79:80], s[22:23], v[23:24]
	v_fma_f64 v[23:24], v[79:80], s[20:21], v[23:24]
	;; [unrolled: 1-line block ×3, first 2 shown]
	s_delay_alu instid0(VALU_DEP_4) | instskip(NEXT) | instid1(VALU_DEP_4)
	v_fma_f64 v[21:22], v[77:78], s[16:17], v[21:22]
	v_fma_f64 v[15:16], v[81:82], s[16:17], v[15:16]
	s_delay_alu instid0(VALU_DEP_4) | instskip(NEXT) | instid1(VALU_DEP_4)
	v_fma_f64 v[23:24], v[81:82], s[18:19], v[23:24]
	v_fma_f64 v[13:14], v[17:18], s[24:25], v[13:14]
	s_delay_alu instid0(VALU_DEP_4) | instskip(SKIP_4) | instid1(VALU_DEP_4)
	v_fma_f64 v[17:18], v[17:18], s[24:25], v[21:22]
	v_add_f64_e32 v[21:22], v[29:30], v[33:34]
	v_fma_f64 v[15:16], v[19:20], s[24:25], v[15:16]
	v_fma_f64 v[19:20], v[19:20], s[24:25], v[23:24]
	v_add_f64_e32 v[23:24], v[31:32], v[35:36]
	v_fma_f64 v[21:22], v[21:22], -0.5, v[0:1]
	v_add_f64_e32 v[0:1], v[0:1], v[25:26]
	v_add_f64_e64 v[25:26], v[25:26], -v[29:30]
	s_delay_alu instid0(VALU_DEP_4) | instskip(SKIP_4) | instid1(VALU_DEP_4)
	v_fma_f64 v[23:24], v[23:24], -0.5, v[2:3]
	v_add_f64_e32 v[2:3], v[2:3], v[27:28]
	v_add_f64_e64 v[27:28], v[27:28], -v[31:32]
	v_add_f64_e32 v[0:1], v[0:1], v[29:30]
	v_add_f64_e64 v[29:30], v[37:38], -v[33:34]
	;; [unrolled: 2-line block ×3, first 2 shown]
	s_delay_alu instid0(VALU_DEP_4)
	v_add_f64_e32 v[0:1], v[0:1], v[33:34]
	v_fma_f64 v[33:34], v[77:78], s[22:23], v[21:22]
	v_fma_f64 v[21:22], v[77:78], s[20:21], v[21:22]
	v_add_f64_e32 v[25:26], v[25:26], v[29:30]
	v_add_f64_e32 v[2:3], v[2:3], v[35:36]
	v_fma_f64 v[35:36], v[81:82], s[20:21], v[23:24]
	v_fma_f64 v[23:24], v[81:82], s[22:23], v[23:24]
	v_add_f64_e32 v[27:28], v[27:28], v[31:32]
	v_fma_f64 v[29:30], v[75:76], s[18:19], v[33:34]
	v_fma_f64 v[31:32], v[75:76], s[16:17], v[21:22]
	v_add_f64_e32 v[0:1], v[0:1], v[37:38]
	v_add_f64_e32 v[2:3], v[2:3], v[39:40]
	v_fma_f64 v[33:34], v[79:80], s[16:17], v[35:36]
	v_fma_f64 v[35:36], v[79:80], s[18:19], v[23:24]
	;; [unrolled: 1-line block ×4, first 2 shown]
	v_add_f64_e64 v[29:30], v[41:42], -v[47:48]
	v_add_f64_e64 v[31:32], v[45:46], -v[49:50]
	v_fma_f64 v[23:24], v[27:28], s[24:25], v[33:34]
	v_fma_f64 v[27:28], v[27:28], s[24:25], v[35:36]
	s_wait_loadcnt 0x0
	ds_store_b128 v4, v[0:3]
	ds_store_b128 v4, v[21:24] offset:720
	ds_store_b128 v4, v[13:16] offset:1440
	;; [unrolled: 1-line block ×4, first 2 shown]
	v_add_f64_e64 v[0:1], v[47:48], -v[41:42]
	v_add_f64_e64 v[2:3], v[51:52], -v[55:56]
	;; [unrolled: 1-line block ×8, first 2 shown]
	v_add_f64_e32 v[13:14], v[0:1], v[2:3]
	v_add_f64_e64 v[0:1], v[49:50], -v[45:46]
	v_add_f64_e64 v[2:3], v[53:54], -v[57:58]
	s_delay_alu instid0(VALU_DEP_1) | instskip(SKIP_1) | instid1(VALU_DEP_1)
	v_add_f64_e32 v[15:16], v[0:1], v[2:3]
	v_add_f64_e32 v[0:1], v[41:42], v[55:56]
	v_fma_f64 v[17:18], v[0:1], -0.5, v[9:10]
	v_add_f64_e32 v[0:1], v[45:46], v[57:58]
	s_delay_alu instid0(VALU_DEP_1) | instskip(NEXT) | instid1(VALU_DEP_3)
	v_fma_f64 v[19:20], v[0:1], -0.5, v[11:12]
	v_fma_f64 v[0:1], v[21:22], s[20:21], v[17:18]
	v_fma_f64 v[17:18], v[21:22], s[22:23], v[17:18]
	s_delay_alu instid0(VALU_DEP_3) | instskip(SKIP_1) | instid1(VALU_DEP_4)
	v_fma_f64 v[2:3], v[25:26], s[22:23], v[19:20]
	v_fma_f64 v[19:20], v[25:26], s[20:21], v[19:20]
	;; [unrolled: 1-line block ×3, first 2 shown]
	s_delay_alu instid0(VALU_DEP_4) | instskip(NEXT) | instid1(VALU_DEP_4)
	v_fma_f64 v[17:18], v[23:24], s[16:17], v[17:18]
	v_fma_f64 v[2:3], v[27:28], s[16:17], v[2:3]
	s_delay_alu instid0(VALU_DEP_4) | instskip(NEXT) | instid1(VALU_DEP_4)
	v_fma_f64 v[19:20], v[27:28], s[18:19], v[19:20]
	v_fma_f64 v[0:1], v[13:14], s[24:25], v[0:1]
	s_delay_alu instid0(VALU_DEP_4) | instskip(SKIP_4) | instid1(VALU_DEP_4)
	v_fma_f64 v[13:14], v[13:14], s[24:25], v[17:18]
	v_add_f64_e32 v[17:18], v[47:48], v[51:52]
	v_fma_f64 v[2:3], v[15:16], s[24:25], v[2:3]
	v_fma_f64 v[15:16], v[15:16], s[24:25], v[19:20]
	v_add_f64_e32 v[19:20], v[49:50], v[53:54]
	v_fma_f64 v[17:18], v[17:18], -0.5, v[9:10]
	v_add_f64_e32 v[9:10], v[9:10], v[41:42]
	s_delay_alu instid0(VALU_DEP_3) | instskip(SKIP_1) | instid1(VALU_DEP_4)
	v_fma_f64 v[19:20], v[19:20], -0.5, v[11:12]
	v_add_f64_e32 v[11:12], v[11:12], v[45:46]
	v_fma_f64 v[37:38], v[23:24], s[22:23], v[17:18]
	s_delay_alu instid0(VALU_DEP_4)
	v_add_f64_e32 v[9:10], v[9:10], v[47:48]
	v_fma_f64 v[17:18], v[23:24], s[20:21], v[17:18]
	v_fma_f64 v[23:24], v[27:28], s[20:21], v[19:20]
	v_add_f64_e32 v[11:12], v[11:12], v[49:50]
	v_fma_f64 v[19:20], v[27:28], s[22:23], v[19:20]
	v_add_f64_e32 v[9:10], v[9:10], v[51:52]
	v_add_f64_e32 v[27:28], v[29:30], v[33:34]
	;; [unrolled: 1-line block ×3, first 2 shown]
	v_fma_f64 v[31:32], v[21:22], s[18:19], v[37:38]
	v_fma_f64 v[21:22], v[21:22], s[16:17], v[17:18]
	;; [unrolled: 1-line block ×3, first 2 shown]
	v_add_f64_e32 v[11:12], v[11:12], v[53:54]
	v_fma_f64 v[25:26], v[25:26], s[18:19], v[19:20]
	v_add_f64_e32 v[9:10], v[9:10], v[55:56]
	v_fma_f64 v[17:18], v[27:28], s[24:25], v[31:32]
	v_fma_f64 v[21:22], v[27:28], s[24:25], v[21:22]
	v_add_f64_e64 v[27:28], v[61:62], -v[65:66]
	v_add_f64_e64 v[31:32], v[73:74], -v[69:70]
	v_fma_f64 v[19:20], v[29:30], s[24:25], v[23:24]
	v_add_f64_e32 v[11:12], v[11:12], v[57:58]
	v_fma_f64 v[23:24], v[29:30], s[24:25], v[25:26]
	ds_store_b128 v155, v[9:12]
	ds_store_b128 v155, v[17:20] offset:720
	ds_store_b128 v155, v[0:3] offset:1440
	ds_store_b128 v155, v[13:16] offset:2160
	ds_store_b128 v155, v[21:24] offset:2880
	v_add_f64_e64 v[0:1], v[63:64], -v[59:60]
	v_add_f64_e64 v[2:3], v[67:68], -v[71:72]
	;; [unrolled: 1-line block ×8, first 2 shown]
	v_add_f64_e32 v[9:10], v[0:1], v[2:3]
	v_add_f64_e64 v[0:1], v[65:66], -v[61:62]
	v_add_f64_e64 v[2:3], v[69:70], -v[73:74]
	s_delay_alu instid0(VALU_DEP_1) | instskip(SKIP_1) | instid1(VALU_DEP_1)
	v_add_f64_e32 v[11:12], v[0:1], v[2:3]
	v_add_f64_e32 v[0:1], v[59:60], v[71:72]
	v_fma_f64 v[13:14], v[0:1], -0.5, v[5:6]
	v_add_f64_e32 v[0:1], v[61:62], v[73:74]
	s_delay_alu instid0(VALU_DEP_1) | instskip(NEXT) | instid1(VALU_DEP_3)
	v_fma_f64 v[15:16], v[0:1], -0.5, v[7:8]
	v_fma_f64 v[0:1], v[17:18], s[20:21], v[13:14]
	v_fma_f64 v[13:14], v[17:18], s[22:23], v[13:14]
	s_delay_alu instid0(VALU_DEP_3) | instskip(SKIP_1) | instid1(VALU_DEP_4)
	v_fma_f64 v[2:3], v[21:22], s[22:23], v[15:16]
	v_fma_f64 v[15:16], v[21:22], s[20:21], v[15:16]
	;; [unrolled: 1-line block ×3, first 2 shown]
	s_delay_alu instid0(VALU_DEP_4) | instskip(NEXT) | instid1(VALU_DEP_4)
	v_fma_f64 v[13:14], v[19:20], s[16:17], v[13:14]
	v_fma_f64 v[2:3], v[23:24], s[16:17], v[2:3]
	s_delay_alu instid0(VALU_DEP_4) | instskip(NEXT) | instid1(VALU_DEP_4)
	v_fma_f64 v[15:16], v[23:24], s[18:19], v[15:16]
	v_fma_f64 v[0:1], v[9:10], s[24:25], v[0:1]
	s_delay_alu instid0(VALU_DEP_4) | instskip(SKIP_4) | instid1(VALU_DEP_4)
	v_fma_f64 v[9:10], v[9:10], s[24:25], v[13:14]
	v_add_f64_e32 v[13:14], v[63:64], v[67:68]
	v_fma_f64 v[2:3], v[11:12], s[24:25], v[2:3]
	v_fma_f64 v[11:12], v[11:12], s[24:25], v[15:16]
	v_add_f64_e32 v[15:16], v[65:66], v[69:70]
	v_fma_f64 v[13:14], v[13:14], -0.5, v[5:6]
	v_add_f64_e32 v[4:5], v[5:6], v[59:60]
	s_delay_alu instid0(VALU_DEP_3) | instskip(SKIP_1) | instid1(VALU_DEP_4)
	v_fma_f64 v[15:16], v[15:16], -0.5, v[7:8]
	v_add_f64_e32 v[6:7], v[7:8], v[61:62]
	v_fma_f64 v[33:34], v[19:20], s[22:23], v[13:14]
	s_delay_alu instid0(VALU_DEP_4)
	v_add_f64_e32 v[4:5], v[4:5], v[63:64]
	v_fma_f64 v[13:14], v[19:20], s[20:21], v[13:14]
	v_fma_f64 v[19:20], v[23:24], s[20:21], v[15:16]
	v_add_f64_e32 v[6:7], v[6:7], v[65:66]
	v_fma_f64 v[15:16], v[23:24], s[22:23], v[15:16]
	v_add_f64_e32 v[4:5], v[4:5], v[67:68]
	v_add_f64_e32 v[23:24], v[25:26], v[29:30]
	;; [unrolled: 1-line block ×3, first 2 shown]
	v_fma_f64 v[27:28], v[17:18], s[18:19], v[33:34]
	v_fma_f64 v[17:18], v[17:18], s[16:17], v[13:14]
	;; [unrolled: 1-line block ×3, first 2 shown]
	v_add_f64_e32 v[6:7], v[6:7], v[69:70]
	v_fma_f64 v[21:22], v[21:22], s[18:19], v[15:16]
	v_add_f64_e32 v[4:5], v[4:5], v[71:72]
	v_fma_f64 v[13:14], v[23:24], s[24:25], v[27:28]
	v_fma_f64 v[17:18], v[23:24], s[24:25], v[17:18]
	v_fma_f64 v[15:16], v[25:26], s[24:25], v[19:20]
	v_add_f64_e32 v[6:7], v[6:7], v[73:74]
	v_fma_f64 v[19:20], v[25:26], s[24:25], v[21:22]
	ds_store_b128 v154, v[4:7]
	ds_store_b128 v154, v[13:16] offset:720
	ds_store_b128 v154, v[0:3] offset:1440
	;; [unrolled: 1-line block ×4, first 2 shown]
	global_wb scope:SCOPE_SE
	s_wait_dscnt 0x0
	s_barrier_signal -1
	s_barrier_wait -1
	global_inv scope:SCOPE_SE
	ds_load_b128 v[0:3], v44 offset:10800
	ds_load_b128 v[4:7], v44 offset:8640
	scratch_load_b128 v[10:13], off, off offset:364 th:TH_LOAD_LU ; 16-byte Folded Reload
	s_wait_loadcnt_dscnt 0x1
	v_mul_f64_e32 v[8:9], v[12:13], v[2:3]
	s_delay_alu instid0(VALU_DEP_1) | instskip(SKIP_1) | instid1(VALU_DEP_1)
	v_fma_f64 v[16:17], v[10:11], v[0:1], v[8:9]
	v_mul_f64_e32 v[0:1], v[12:13], v[0:1]
	v_fma_f64 v[18:19], v[10:11], v[2:3], -v[0:1]
	ds_load_b128 v[0:3], v44 offset:21600
	ds_load_b128 v[8:11], v44 offset:23760
	scratch_load_b128 v[22:25], off, off offset:348 th:TH_LOAD_LU ; 16-byte Folded Reload
	s_wait_loadcnt_dscnt 0x1
	v_mul_f64_e32 v[12:13], v[24:25], v[2:3]
	s_delay_alu instid0(VALU_DEP_1) | instskip(SKIP_1) | instid1(VALU_DEP_1)
	v_fma_f64 v[20:21], v[22:23], v[0:1], v[12:13]
	v_mul_f64_e32 v[0:1], v[24:25], v[0:1]
	v_fma_f64 v[22:23], v[22:23], v[2:3], -v[0:1]
	ds_load_b128 v[0:3], v44 offset:12960
	ds_load_b128 v[12:15], v44 offset:15120
	scratch_load_b128 v[30:33], off, off offset:380 th:TH_LOAD_LU ; 16-byte Folded Reload
	s_wait_dscnt 0x1
	v_mul_f64_e32 v[24:25], v[118:119], v[2:3]
	s_delay_alu instid0(VALU_DEP_1) | instskip(SKIP_1) | instid1(VALU_DEP_1)
	v_fma_f64 v[24:25], v[116:117], v[0:1], v[24:25]
	v_mul_f64_e32 v[0:1], v[118:119], v[0:1]
	v_fma_f64 v[26:27], v[116:117], v[2:3], -v[0:1]
	s_wait_loadcnt 0x0
	v_mul_f64_e32 v[0:1], v[32:33], v[10:11]
	s_delay_alu instid0(VALU_DEP_1) | instskip(SKIP_1) | instid1(VALU_DEP_1)
	v_fma_f64 v[28:29], v[30:31], v[8:9], v[0:1]
	v_mul_f64_e32 v[0:1], v[32:33], v[8:9]
	v_fma_f64 v[30:31], v[30:31], v[10:11], -v[0:1]
	s_wait_dscnt 0x0
	v_mul_f64_e32 v[0:1], v[122:123], v[14:15]
	s_delay_alu instid0(VALU_DEP_1) | instskip(SKIP_1) | instid1(VALU_DEP_1)
	v_fma_f64 v[36:37], v[120:121], v[12:13], v[0:1]
	v_mul_f64_e32 v[0:1], v[122:123], v[12:13]
	v_fma_f64 v[38:39], v[120:121], v[14:15], -v[0:1]
	ds_load_b128 v[0:3], v44 offset:25920
	ds_load_b128 v[8:11], v44 offset:28080
	scratch_load_b128 v[32:35], off, off offset:396 th:TH_LOAD_LU ; 16-byte Folded Reload
	s_wait_loadcnt_dscnt 0x1
	v_mul_f64_e32 v[12:13], v[34:35], v[2:3]
	s_delay_alu instid0(VALU_DEP_1) | instskip(SKIP_1) | instid1(VALU_DEP_1)
	v_fma_f64 v[40:41], v[32:33], v[0:1], v[12:13]
	v_mul_f64_e32 v[0:1], v[34:35], v[0:1]
	v_fma_f64 v[42:43], v[32:33], v[2:3], -v[0:1]
	ds_load_b128 v[0:3], v44 offset:17280
	ds_load_b128 v[12:15], v44 offset:19440
	s_wait_dscnt 0x1
	v_mul_f64_e32 v[32:33], v[130:131], v[2:3]
	s_delay_alu instid0(VALU_DEP_1) | instskip(SKIP_1) | instid1(VALU_DEP_1)
	v_fma_f64 v[45:46], v[128:129], v[0:1], v[32:33]
	v_mul_f64_e32 v[0:1], v[130:131], v[0:1]
	v_fma_f64 v[47:48], v[128:129], v[2:3], -v[0:1]
	v_mul_f64_e32 v[0:1], v[126:127], v[10:11]
	s_delay_alu instid0(VALU_DEP_1) | instskip(SKIP_1) | instid1(VALU_DEP_1)
	v_fma_f64 v[49:50], v[124:125], v[8:9], v[0:1]
	v_mul_f64_e32 v[0:1], v[126:127], v[8:9]
	v_fma_f64 v[51:52], v[124:125], v[10:11], -v[0:1]
	s_wait_dscnt 0x0
	v_mul_f64_e32 v[0:1], v[109:110], v[14:15]
	s_delay_alu instid0(VALU_DEP_1) | instskip(SKIP_2) | instid1(VALU_DEP_2)
	v_fma_f64 v[53:54], v[107:108], v[12:13], v[0:1]
	v_mul_f64_e32 v[0:1], v[109:110], v[12:13]
	v_add_f64_e32 v[12:13], v[16:17], v[20:21]
	v_fma_f64 v[55:56], v[107:108], v[14:15], -v[0:1]
	ds_load_b128 v[0:3], v44 offset:30240
	s_wait_dscnt 0x0
	v_mul_f64_e32 v[8:9], v[113:114], v[2:3]
	s_delay_alu instid0(VALU_DEP_1) | instskip(SKIP_1) | instid1(VALU_DEP_1)
	v_fma_f64 v[57:58], v[111:112], v[0:1], v[8:9]
	v_mul_f64_e32 v[0:1], v[113:114], v[0:1]
	v_fma_f64 v[59:60], v[111:112], v[2:3], -v[0:1]
	ds_load_b128 v[0:3], v44
	ds_load_b128 v[8:11], v44 offset:2160
	s_wait_dscnt 0x1
	v_fma_f64 v[14:15], v[12:13], -0.5, v[0:1]
	v_add_f64_e32 v[12:13], v[18:19], v[22:23]
	v_add_f64_e32 v[0:1], v[0:1], v[16:17]
	s_delay_alu instid0(VALU_DEP_2) | instskip(SKIP_2) | instid1(VALU_DEP_4)
	v_fma_f64 v[32:33], v[12:13], -0.5, v[2:3]
	v_add_f64_e32 v[2:3], v[2:3], v[18:19]
	v_add_f64_e64 v[18:19], v[18:19], -v[22:23]
	v_add_f64_e32 v[0:1], v[0:1], v[20:21]
	v_add_f64_e64 v[20:21], v[16:17], -v[20:21]
	s_delay_alu instid0(VALU_DEP_4) | instskip(NEXT) | instid1(VALU_DEP_4)
	v_add_f64_e32 v[2:3], v[2:3], v[22:23]
	v_fma_f64 v[12:13], v[18:19], s[14:15], v[14:15]
	v_fma_f64 v[16:17], v[18:19], s[12:13], v[14:15]
	s_delay_alu instid0(VALU_DEP_4) | instskip(SKIP_3) | instid1(VALU_DEP_1)
	v_fma_f64 v[14:15], v[20:21], s[12:13], v[32:33]
	v_fma_f64 v[18:19], v[20:21], s[14:15], v[32:33]
	v_add_f64_e32 v[20:21], v[24:25], v[28:29]
	s_wait_dscnt 0x0
	v_fma_f64 v[22:23], v[20:21], -0.5, v[8:9]
	v_add_f64_e32 v[20:21], v[26:27], v[30:31]
	v_add_f64_e32 v[8:9], v[8:9], v[24:25]
	s_delay_alu instid0(VALU_DEP_2) | instskip(SKIP_2) | instid1(VALU_DEP_4)
	v_fma_f64 v[32:33], v[20:21], -0.5, v[10:11]
	v_add_f64_e32 v[10:11], v[10:11], v[26:27]
	v_add_f64_e64 v[26:27], v[26:27], -v[30:31]
	v_add_f64_e32 v[8:9], v[8:9], v[28:29]
	v_add_f64_e64 v[28:29], v[24:25], -v[28:29]
	s_delay_alu instid0(VALU_DEP_4) | instskip(NEXT) | instid1(VALU_DEP_4)
	v_add_f64_e32 v[10:11], v[10:11], v[30:31]
	v_fma_f64 v[20:21], v[26:27], s[14:15], v[22:23]
	v_fma_f64 v[24:25], v[26:27], s[12:13], v[22:23]
	s_delay_alu instid0(VALU_DEP_4)
	v_fma_f64 v[22:23], v[28:29], s[12:13], v[32:33]
	v_fma_f64 v[26:27], v[28:29], s[14:15], v[32:33]
	ds_load_b128 v[28:31], v44 offset:4320
	ds_load_b128 v[32:35], v44 offset:6480
	global_wb scope:SCOPE_SE
	s_wait_dscnt 0x0
	s_barrier_signal -1
	s_barrier_wait -1
	global_inv scope:SCOPE_SE
	ds_store_b128 v44, v[0:3]
	ds_store_b128 v44, v[12:15] offset:3600
	ds_store_b128 v44, v[16:19] offset:7200
	ds_store_b128 v133, v[8:11]
	ds_store_b128 v133, v[20:23] offset:3600
	ds_store_b128 v133, v[24:27] offset:7200
	v_add_f64_e32 v[0:1], v[36:37], v[40:41]
	v_add_f64_e32 v[8:9], v[28:29], v[36:37]
	v_add_f64_e64 v[12:13], v[38:39], -v[42:43]
	v_add_f64_e64 v[16:17], v[36:37], -v[40:41]
	v_add_f64_e32 v[20:21], v[32:33], v[45:46]
	v_add_f64_e64 v[24:25], v[47:48], -v[51:52]
	v_fma_f64 v[10:11], v[0:1], -0.5, v[28:29]
	v_add_f64_e32 v[0:1], v[38:39], v[42:43]
	v_add_f64_e64 v[28:29], v[45:46], -v[49:50]
	s_delay_alu instid0(VALU_DEP_2) | instskip(SKIP_1) | instid1(VALU_DEP_1)
	v_fma_f64 v[14:15], v[0:1], -0.5, v[30:31]
	v_add_f64_e32 v[0:1], v[30:31], v[38:39]
	v_add_f64_e32 v[2:3], v[0:1], v[42:43]
	;; [unrolled: 1-line block ×3, first 2 shown]
	v_fma_f64 v[8:9], v[12:13], s[14:15], v[10:11]
	v_fma_f64 v[12:13], v[12:13], s[12:13], v[10:11]
	;; [unrolled: 1-line block ×4, first 2 shown]
	v_add_f64_e32 v[16:17], v[45:46], v[49:50]
	s_delay_alu instid0(VALU_DEP_1) | instskip(SKIP_1) | instid1(VALU_DEP_1)
	v_fma_f64 v[22:23], v[16:17], -0.5, v[32:33]
	v_add_f64_e32 v[16:17], v[47:48], v[51:52]
	v_fma_f64 v[26:27], v[16:17], -0.5, v[34:35]
	v_add_f64_e32 v[16:17], v[34:35], v[47:48]
	s_delay_alu instid0(VALU_DEP_1)
	v_add_f64_e32 v[18:19], v[16:17], v[51:52]
	v_add_f64_e32 v[16:17], v[20:21], v[49:50]
	v_fma_f64 v[20:21], v[24:25], s[14:15], v[22:23]
	v_fma_f64 v[24:25], v[24:25], s[12:13], v[22:23]
	;; [unrolled: 1-line block ×4, first 2 shown]
	ds_store_b128 v44, v[0:3] offset:11520
	ds_store_b128 v44, v[8:11] offset:15120
	;; [unrolled: 1-line block ×3, first 2 shown]
	ds_store_b128 v132, v[16:19]
	ds_store_b128 v132, v[20:23] offset:3600
	ds_store_b128 v132, v[24:27] offset:7200
	v_add_f64_e32 v[0:1], v[53:54], v[57:58]
	v_add_f64_e64 v[12:13], v[53:54], -v[57:58]
	s_delay_alu instid0(VALU_DEP_2) | instskip(SKIP_2) | instid1(VALU_DEP_2)
	v_fma_f64 v[8:9], v[0:1], -0.5, v[4:5]
	v_add_f64_e32 v[0:1], v[55:56], v[59:60]
	v_add_f64_e32 v[4:5], v[4:5], v[53:54]
	v_fma_f64 v[10:11], v[0:1], -0.5, v[6:7]
	v_add_f64_e32 v[0:1], v[6:7], v[55:56]
	v_add_f64_e64 v[6:7], v[55:56], -v[59:60]
	s_delay_alu instid0(VALU_DEP_2) | instskip(SKIP_1) | instid1(VALU_DEP_3)
	v_add_f64_e32 v[2:3], v[0:1], v[59:60]
	v_add_f64_e32 v[0:1], v[4:5], v[57:58]
	v_fma_f64 v[4:5], v[6:7], s[14:15], v[8:9]
	v_fma_f64 v[8:9], v[6:7], s[12:13], v[8:9]
	;; [unrolled: 1-line block ×4, first 2 shown]
	ds_store_b128 v91, v[0:3] offset:21600
	ds_store_b128 v91, v[4:7] offset:25200
	;; [unrolled: 1-line block ×3, first 2 shown]
	global_wb scope:SCOPE_SE
	s_wait_dscnt 0x0
	s_barrier_signal -1
	s_barrier_wait -1
	global_inv scope:SCOPE_SE
	ds_load_b128 v[1:4], v44 offset:10800
	ds_load_b128 v[5:8], v44 offset:8640
	scratch_load_b128 v[11:14], off, off offset:252 th:TH_LOAD_LU ; 16-byte Folded Reload
	s_wait_loadcnt_dscnt 0x1
	v_mul_f64_e32 v[9:10], v[13:14], v[3:4]
	s_delay_alu instid0(VALU_DEP_1) | instskip(SKIP_1) | instid1(VALU_DEP_1)
	v_fma_f64 v[17:18], v[11:12], v[1:2], v[9:10]
	v_mul_f64_e32 v[0:1], v[13:14], v[1:2]
	v_fma_f64 v[19:20], v[11:12], v[3:4], -v[0:1]
	ds_load_b128 v[0:3], v44 offset:21600
	ds_load_b128 v[9:12], v44 offset:23760
	scratch_load_b128 v[23:26], off, off offset:268 th:TH_LOAD_LU ; 16-byte Folded Reload
	s_wait_loadcnt_dscnt 0x1
	v_mul_f64_e32 v[13:14], v[25:26], v[2:3]
	s_delay_alu instid0(VALU_DEP_1) | instskip(SKIP_1) | instid1(VALU_DEP_1)
	v_fma_f64 v[21:22], v[23:24], v[0:1], v[13:14]
	v_mul_f64_e32 v[0:1], v[25:26], v[0:1]
	v_fma_f64 v[23:24], v[23:24], v[2:3], -v[0:1]
	ds_load_b128 v[0:3], v44 offset:12960
	ds_load_b128 v[13:16], v44 offset:15120
	s_clause 0x1
	scratch_load_b128 v[27:30], off, off offset:284 th:TH_LOAD_LU
	scratch_load_b128 v[31:34], off, off offset:300 th:TH_LOAD_LU
	s_wait_loadcnt_dscnt 0x101
	v_mul_f64_e32 v[25:26], v[29:30], v[2:3]
	s_delay_alu instid0(VALU_DEP_1) | instskip(SKIP_1) | instid1(VALU_DEP_1)
	v_fma_f64 v[25:26], v[27:28], v[0:1], v[25:26]
	v_mul_f64_e32 v[0:1], v[29:30], v[0:1]
	v_fma_f64 v[27:28], v[27:28], v[2:3], -v[0:1]
	s_wait_loadcnt 0x0
	v_mul_f64_e32 v[0:1], v[33:34], v[11:12]
	s_delay_alu instid0(VALU_DEP_1) | instskip(SKIP_1) | instid1(VALU_DEP_1)
	v_fma_f64 v[29:30], v[31:32], v[9:10], v[0:1]
	v_mul_f64_e32 v[0:1], v[33:34], v[9:10]
	v_fma_f64 v[31:32], v[31:32], v[11:12], -v[0:1]
	s_wait_dscnt 0x0
	v_mul_f64_e32 v[0:1], v[94:95], v[15:16]
	s_delay_alu instid0(VALU_DEP_1) | instskip(SKIP_1) | instid1(VALU_DEP_1)
	v_fma_f64 v[37:38], v[92:93], v[13:14], v[0:1]
	v_mul_f64_e32 v[0:1], v[94:95], v[13:14]
	v_fma_f64 v[39:40], v[92:93], v[15:16], -v[0:1]
	ds_load_b128 v[0:3], v44 offset:25920
	ds_load_b128 v[9:12], v44 offset:28080
	scratch_load_b128 v[33:36], off, off offset:316 th:TH_LOAD_LU ; 16-byte Folded Reload
	s_wait_loadcnt_dscnt 0x1
	v_mul_f64_e32 v[13:14], v[35:36], v[2:3]
	s_delay_alu instid0(VALU_DEP_1) | instskip(SKIP_1) | instid1(VALU_DEP_2)
	v_fma_f64 v[41:42], v[33:34], v[0:1], v[13:14]
	v_mul_f64_e32 v[0:1], v[35:36], v[0:1]
	v_add_f64_e32 v[47:48], v[37:38], v[41:42]
	s_delay_alu instid0(VALU_DEP_2)
	v_fma_f64 v[45:46], v[33:34], v[2:3], -v[0:1]
	ds_load_b128 v[0:3], v44 offset:17280
	ds_load_b128 v[13:16], v44 offset:19440
	s_wait_dscnt 0x1
	v_mul_f64_e32 v[33:34], v[98:99], v[2:3]
	v_add_f64_e32 v[65:66], v[39:40], v[45:46]
	s_delay_alu instid0(VALU_DEP_2) | instskip(SKIP_2) | instid1(VALU_DEP_1)
	v_fma_f64 v[49:50], v[96:97], v[0:1], v[33:34]
	scratch_load_b128 v[33:36], off, off offset:332 th:TH_LOAD_LU ; 16-byte Folded Reload
	v_mul_f64_e32 v[0:1], v[98:99], v[0:1]
	v_fma_f64 v[51:52], v[96:97], v[2:3], -v[0:1]
	s_wait_loadcnt 0x0
	v_mul_f64_e32 v[0:1], v[35:36], v[11:12]
	s_delay_alu instid0(VALU_DEP_1) | instskip(SKIP_1) | instid1(VALU_DEP_1)
	v_fma_f64 v[53:54], v[33:34], v[9:10], v[0:1]
	v_mul_f64_e32 v[0:1], v[35:36], v[9:10]
	v_fma_f64 v[55:56], v[33:34], v[11:12], -v[0:1]
	s_wait_dscnt 0x0
	v_mul_f64_e32 v[0:1], v[87:88], v[15:16]
	s_delay_alu instid0(VALU_DEP_1) | instskip(SKIP_2) | instid1(VALU_DEP_2)
	v_fma_f64 v[57:58], v[85:86], v[13:14], v[0:1]
	v_mul_f64_e32 v[0:1], v[87:88], v[13:14]
	v_add_f64_e32 v[13:14], v[17:18], v[21:22]
	v_fma_f64 v[59:60], v[85:86], v[15:16], -v[0:1]
	ds_load_b128 v[0:3], v44 offset:30240
	s_wait_dscnt 0x0
	v_mul_f64_e32 v[9:10], v[102:103], v[2:3]
	s_delay_alu instid0(VALU_DEP_1) | instskip(SKIP_1) | instid1(VALU_DEP_1)
	v_fma_f64 v[61:62], v[100:101], v[0:1], v[9:10]
	v_mul_f64_e32 v[0:1], v[102:103], v[0:1]
	v_fma_f64 v[63:64], v[100:101], v[2:3], -v[0:1]
	ds_load_b128 v[0:3], v44
	ds_load_b128 v[9:12], v44 offset:2160
	s_wait_dscnt 0x1
	v_fma_f64 v[15:16], v[13:14], -0.5, v[0:1]
	v_add_f64_e32 v[13:14], v[19:20], v[23:24]
	v_add_f64_e32 v[0:1], v[0:1], v[17:18]
	s_delay_alu instid0(VALU_DEP_2) | instskip(SKIP_2) | instid1(VALU_DEP_4)
	v_fma_f64 v[33:34], v[13:14], -0.5, v[2:3]
	v_add_f64_e32 v[2:3], v[2:3], v[19:20]
	v_add_f64_e64 v[19:20], v[19:20], -v[23:24]
	v_add_f64_e32 v[0:1], v[0:1], v[21:22]
	v_add_f64_e64 v[21:22], v[17:18], -v[21:22]
	s_delay_alu instid0(VALU_DEP_4) | instskip(NEXT) | instid1(VALU_DEP_4)
	v_add_f64_e32 v[2:3], v[2:3], v[23:24]
	v_fma_f64 v[13:14], v[19:20], s[14:15], v[15:16]
	v_fma_f64 v[17:18], v[19:20], s[12:13], v[15:16]
	s_delay_alu instid0(VALU_DEP_4) | instskip(SKIP_3) | instid1(VALU_DEP_1)
	v_fma_f64 v[15:16], v[21:22], s[12:13], v[33:34]
	v_fma_f64 v[19:20], v[21:22], s[14:15], v[33:34]
	v_add_f64_e32 v[21:22], v[25:26], v[29:30]
	s_wait_dscnt 0x0
	v_fma_f64 v[23:24], v[21:22], -0.5, v[9:10]
	v_add_f64_e32 v[21:22], v[27:28], v[31:32]
	v_add_f64_e32 v[9:10], v[9:10], v[25:26]
	s_delay_alu instid0(VALU_DEP_2) | instskip(SKIP_2) | instid1(VALU_DEP_4)
	v_fma_f64 v[33:34], v[21:22], -0.5, v[11:12]
	v_add_f64_e32 v[11:12], v[11:12], v[27:28]
	v_add_f64_e64 v[27:28], v[27:28], -v[31:32]
	v_add_f64_e32 v[9:10], v[9:10], v[29:30]
	v_add_f64_e64 v[29:30], v[25:26], -v[29:30]
	s_delay_alu instid0(VALU_DEP_4) | instskip(NEXT) | instid1(VALU_DEP_4)
	v_add_f64_e32 v[11:12], v[11:12], v[31:32]
	v_fma_f64 v[21:22], v[27:28], s[14:15], v[23:24]
	v_fma_f64 v[25:26], v[27:28], s[12:13], v[23:24]
	s_delay_alu instid0(VALU_DEP_4)
	v_fma_f64 v[23:24], v[29:30], s[12:13], v[33:34]
	v_fma_f64 v[27:28], v[29:30], s[14:15], v[33:34]
	ds_load_b128 v[29:32], v44 offset:4320
	ds_load_b128 v[33:36], v44 offset:6480
	s_wait_dscnt 0x1
	v_fma_f64 v[47:48], v[47:48], -0.5, v[29:30]
	v_add_f64_e32 v[29:30], v[29:30], v[37:38]
	v_fma_f64 v[65:66], v[65:66], -0.5, v[31:32]
	v_add_f64_e32 v[31:32], v[31:32], v[39:40]
	v_add_f64_e64 v[39:40], v[39:40], -v[45:46]
	s_delay_alu instid0(VALU_DEP_4) | instskip(SKIP_1) | instid1(VALU_DEP_4)
	v_add_f64_e32 v[29:30], v[29:30], v[41:42]
	v_add_f64_e64 v[41:42], v[37:38], -v[41:42]
	v_add_f64_e32 v[31:32], v[31:32], v[45:46]
	s_delay_alu instid0(VALU_DEP_4) | instskip(SKIP_1) | instid1(VALU_DEP_4)
	v_fma_f64 v[37:38], v[39:40], s[14:15], v[47:48]
	v_fma_f64 v[45:46], v[39:40], s[12:13], v[47:48]
	;; [unrolled: 1-line block ×4, first 2 shown]
	v_add_f64_e32 v[65:66], v[51:52], v[55:56]
	v_add_f64_e32 v[41:42], v[49:50], v[53:54]
	s_wait_dscnt 0x0
	s_delay_alu instid0(VALU_DEP_2) | instskip(SKIP_1) | instid1(VALU_DEP_3)
	v_fma_f64 v[65:66], v[65:66], -0.5, v[35:36]
	v_add_f64_e32 v[35:36], v[35:36], v[51:52]
	v_fma_f64 v[41:42], v[41:42], -0.5, v[33:34]
	v_add_f64_e32 v[33:34], v[33:34], v[49:50]
	v_add_f64_e64 v[51:52], v[51:52], -v[55:56]
	s_delay_alu instid0(VALU_DEP_4) | instskip(SKIP_1) | instid1(VALU_DEP_4)
	v_add_f64_e32 v[35:36], v[35:36], v[55:56]
	v_add_f64_e64 v[55:56], v[49:50], -v[53:54]
	v_add_f64_e32 v[33:34], v[33:34], v[53:54]
	s_delay_alu instid0(VALU_DEP_4)
	v_fma_f64 v[49:50], v[51:52], s[14:15], v[41:42]
	v_fma_f64 v[53:54], v[51:52], s[12:13], v[41:42]
	v_add_f64_e32 v[41:42], v[57:58], v[61:62]
	v_fma_f64 v[51:52], v[55:56], s[12:13], v[65:66]
	v_fma_f64 v[55:56], v[55:56], s[14:15], v[65:66]
	v_add_f64_e32 v[65:66], v[59:60], v[63:64]
	s_delay_alu instid0(VALU_DEP_4) | instskip(SKIP_1) | instid1(VALU_DEP_3)
	v_fma_f64 v[41:42], v[41:42], -0.5, v[5:6]
	v_add_f64_e32 v[4:5], v[5:6], v[57:58]
	v_fma_f64 v[65:66], v[65:66], -0.5, v[7:8]
	v_add_f64_e32 v[7:8], v[7:8], v[59:60]
	v_add_f64_e64 v[59:60], v[59:60], -v[63:64]
	s_delay_alu instid0(VALU_DEP_4) | instskip(NEXT) | instid1(VALU_DEP_3)
	v_add_f64_e32 v[4:5], v[4:5], v[61:62]
	v_add_f64_e32 v[6:7], v[7:8], v[63:64]
	v_add_f64_e64 v[63:64], v[57:58], -v[61:62]
	s_delay_alu instid0(VALU_DEP_4) | instskip(SKIP_1) | instid1(VALU_DEP_3)
	v_fma_f64 v[57:58], v[59:60], s[14:15], v[41:42]
	v_fma_f64 v[61:62], v[59:60], s[12:13], v[41:42]
	;; [unrolled: 1-line block ×4, first 2 shown]
	ds_store_b128 v44, v[0:3]
	ds_store_b128 v44, v[9:12] offset:2160
	ds_store_b128 v44, v[29:32] offset:4320
	;; [unrolled: 1-line block ×14, first 2 shown]
	global_wb scope:SCOPE_SE
	s_wait_dscnt 0x0
	s_barrier_signal -1
	s_barrier_wait -1
	global_inv scope:SCOPE_SE
	ds_load_b128 v[0:3], v44
	ds_load_b128 v[4:7], v44 offset:2160
	scratch_load_b128 v[10:13], off, off offset:232 th:TH_LOAD_LU ; 16-byte Folded Reload
	s_wait_loadcnt_dscnt 0x1
	v_mul_f64_e32 v[8:9], v[12:13], v[2:3]
	s_delay_alu instid0(VALU_DEP_1) | instskip(SKIP_1) | instid1(VALU_DEP_1)
	v_fma_f64 v[16:17], v[10:11], v[0:1], v[8:9]
	v_mul_f64_e32 v[0:1], v[12:13], v[0:1]
	v_fma_f64 v[18:19], v[10:11], v[2:3], -v[0:1]
	ds_load_b128 v[0:3], v44 offset:10800
	ds_load_b128 v[8:11], v44 offset:8640
	scratch_load_b128 v[22:25], off, off offset:8 th:TH_LOAD_LU ; 16-byte Folded Reload
	s_wait_loadcnt_dscnt 0x1
	v_mul_f64_e32 v[12:13], v[24:25], v[2:3]
	s_delay_alu instid0(VALU_DEP_1) | instskip(SKIP_1) | instid1(VALU_DEP_1)
	v_fma_f64 v[20:21], v[22:23], v[0:1], v[12:13]
	v_mul_f64_e32 v[0:1], v[24:25], v[0:1]
	v_fma_f64 v[22:23], v[22:23], v[2:3], -v[0:1]
	ds_load_b128 v[0:3], v44 offset:21600
	ds_load_b128 v[12:15], v44 offset:23760
	s_clause 0x1
	scratch_load_b128 v[26:29], off, off offset:24 th:TH_LOAD_LU
	scratch_load_b128 v[30:33], off, off offset:40 th:TH_LOAD_LU
	s_wait_loadcnt_dscnt 0x101
	v_mul_f64_e32 v[24:25], v[28:29], v[2:3]
	s_delay_alu instid0(VALU_DEP_1) | instskip(SKIP_1) | instid1(VALU_DEP_1)
	v_fma_f64 v[24:25], v[26:27], v[0:1], v[24:25]
	v_mul_f64_e32 v[0:1], v[28:29], v[0:1]
	v_fma_f64 v[26:27], v[26:27], v[2:3], -v[0:1]
	s_wait_loadcnt 0x0
	v_mul_f64_e32 v[0:1], v[32:33], v[6:7]
	s_delay_alu instid0(VALU_DEP_1) | instskip(SKIP_1) | instid1(VALU_DEP_1)
	v_fma_f64 v[28:29], v[30:31], v[4:5], v[0:1]
	v_mul_f64_e32 v[0:1], v[32:33], v[4:5]
	v_fma_f64 v[30:31], v[30:31], v[6:7], -v[0:1]
	ds_load_b128 v[0:3], v44 offset:12960
	ds_load_b128 v[4:7], v44 offset:15120
	s_clause 0x1
	scratch_load_b128 v[34:37], off, off offset:56 th:TH_LOAD_LU
	scratch_load_b128 v[38:41], off, off offset:72 th:TH_LOAD_LU
	s_wait_loadcnt_dscnt 0x101
	v_mul_f64_e32 v[32:33], v[36:37], v[2:3]
	s_delay_alu instid0(VALU_DEP_1) | instskip(SKIP_1) | instid1(VALU_DEP_1)
	v_fma_f64 v[32:33], v[34:35], v[0:1], v[32:33]
	v_mul_f64_e32 v[0:1], v[36:37], v[0:1]
	v_fma_f64 v[34:35], v[34:35], v[2:3], -v[0:1]
	s_wait_loadcnt 0x0
	v_mul_f64_e32 v[0:1], v[40:41], v[14:15]
	s_delay_alu instid0(VALU_DEP_1) | instskip(SKIP_1) | instid1(VALU_DEP_1)
	v_fma_f64 v[36:37], v[38:39], v[12:13], v[0:1]
	v_mul_f64_e32 v[0:1], v[40:41], v[12:13]
	v_fma_f64 v[38:39], v[38:39], v[14:15], -v[0:1]
	ds_load_b128 v[0:3], v44 offset:4320
	ds_load_b128 v[12:15], v44 offset:6480
	scratch_load_b128 v[45:48], off, off offset:88 th:TH_LOAD_LU ; 16-byte Folded Reload
	s_wait_loadcnt_dscnt 0x1
	v_mul_f64_e32 v[40:41], v[47:48], v[2:3]
	s_delay_alu instid0(VALU_DEP_1)
	v_fma_f64 v[40:41], v[45:46], v[0:1], v[40:41]
	v_mul_f64_e32 v[0:1], v[47:48], v[0:1]
	scratch_load_b128 v[47:50], off, off offset:104 th:TH_LOAD_LU ; 16-byte Folded Reload
	v_fma_f64 v[42:43], v[45:46], v[2:3], -v[0:1]
	s_wait_loadcnt 0x0
	v_mul_f64_e32 v[0:1], v[49:50], v[6:7]
	s_delay_alu instid0(VALU_DEP_1) | instskip(SKIP_1) | instid1(VALU_DEP_1)
	v_fma_f64 v[45:46], v[47:48], v[4:5], v[0:1]
	v_mul_f64_e32 v[0:1], v[49:50], v[4:5]
	v_fma_f64 v[47:48], v[47:48], v[6:7], -v[0:1]
	ds_load_b128 v[0:3], v44 offset:25920
	ds_load_b128 v[4:7], v44 offset:28080
	s_clause 0x1
	scratch_load_b128 v[51:54], off, off offset:120 th:TH_LOAD_LU
	scratch_load_b128 v[55:58], off, off offset:136 th:TH_LOAD_LU
	s_wait_loadcnt_dscnt 0x101
	v_mul_f64_e32 v[49:50], v[53:54], v[2:3]
	s_delay_alu instid0(VALU_DEP_1) | instskip(SKIP_1) | instid1(VALU_DEP_1)
	v_fma_f64 v[49:50], v[51:52], v[0:1], v[49:50]
	v_mul_f64_e32 v[0:1], v[53:54], v[0:1]
	v_fma_f64 v[51:52], v[51:52], v[2:3], -v[0:1]
	s_wait_loadcnt 0x0
	v_mul_f64_e32 v[0:1], v[57:58], v[14:15]
	s_delay_alu instid0(VALU_DEP_1) | instskip(SKIP_1) | instid1(VALU_DEP_1)
	v_fma_f64 v[53:54], v[55:56], v[12:13], v[0:1]
	v_mul_f64_e32 v[0:1], v[57:58], v[12:13]
	v_fma_f64 v[55:56], v[55:56], v[14:15], -v[0:1]
	ds_load_b128 v[0:3], v44 offset:17280
	ds_load_b128 v[12:15], v44 offset:19440
	s_clause 0x1
	scratch_load_b128 v[59:62], off, off offset:152 th:TH_LOAD_LU
	scratch_load_b128 v[63:66], off, off offset:168 th:TH_LOAD_LU
	s_wait_loadcnt_dscnt 0x101
	v_mul_f64_e32 v[57:58], v[61:62], v[2:3]
	s_delay_alu instid0(VALU_DEP_1) | instskip(SKIP_1) | instid1(VALU_DEP_1)
	v_fma_f64 v[57:58], v[59:60], v[0:1], v[57:58]
	v_mul_f64_e32 v[0:1], v[61:62], v[0:1]
	v_fma_f64 v[59:60], v[59:60], v[2:3], -v[0:1]
	s_wait_loadcnt 0x0
	v_mul_f64_e32 v[0:1], v[65:66], v[6:7]
	s_delay_alu instid0(VALU_DEP_1)
	v_fma_f64 v[61:62], v[63:64], v[4:5], v[0:1]
	v_mul_f64_e32 v[0:1], v[65:66], v[4:5]
	scratch_load_b128 v[2:5], off, off offset:184 th:TH_LOAD_LU ; 16-byte Folded Reload
	v_fma_f64 v[63:64], v[63:64], v[6:7], -v[0:1]
	s_wait_loadcnt 0x0
	v_mul_f64_e32 v[0:1], v[4:5], v[10:11]
	s_delay_alu instid0(VALU_DEP_1)
	v_fma_f64 v[65:66], v[2:3], v[8:9], v[0:1]
	v_mul_f64_e32 v[0:1], v[4:5], v[8:9]
	scratch_load_b128 v[6:9], off, off offset:216 th:TH_LOAD_LU ; 16-byte Folded Reload
	v_fma_f64 v[67:68], v[2:3], v[10:11], -v[0:1]
	scratch_load_b128 v[2:5], off, off offset:200 th:TH_LOAD_LU ; 16-byte Folded Reload
	s_wait_loadcnt_dscnt 0x0
	v_mul_f64_e32 v[0:1], v[4:5], v[14:15]
	s_delay_alu instid0(VALU_DEP_1) | instskip(SKIP_1) | instid1(VALU_DEP_1)
	v_fma_f64 v[69:70], v[2:3], v[12:13], v[0:1]
	v_mul_f64_e32 v[0:1], v[4:5], v[12:13]
	v_fma_f64 v[71:72], v[2:3], v[14:15], -v[0:1]
	ds_load_b128 v[0:3], v44 offset:30240
	s_wait_dscnt 0x0
	v_mul_f64_e32 v[4:5], v[8:9], v[2:3]
	s_delay_alu instid0(VALU_DEP_1) | instskip(SKIP_2) | instid1(VALU_DEP_2)
	v_fma_f64 v[73:74], v[6:7], v[0:1], v[4:5]
	v_mul_f64_e32 v[0:1], v[8:9], v[0:1]
	v_mov_b32_e32 v4, v115
	v_fma_f64 v[75:76], v[6:7], v[2:3], -v[0:1]
	scratch_load_b64 v[2:3], off, off th:TH_LOAD_LU ; 8-byte Folded Reload
	s_wait_loadcnt 0x0
	v_mad_co_u64_u32 v[0:1], null, s6, v2, 0
	s_delay_alu instid0(VALU_DEP_1) | instskip(SKIP_2) | instid1(VALU_DEP_2)
	v_mad_co_u64_u32 v[1:2], null, s7, v2, v[1:2]
	v_mad_co_u64_u32 v[2:3], null, s4, v4, 0
	s_mul_u64 s[6:7], s[4:5], 0x2a30
	v_lshlrev_b64_e32 v[0:1], 4, v[0:1]
	s_delay_alu instid0(VALU_DEP_2) | instskip(NEXT) | instid1(VALU_DEP_2)
	v_mad_co_u64_u32 v[3:4], null, s5, v4, v[3:4]
	v_add_co_u32 v4, vcc_lo, s0, v0
	s_wait_alu 0xfffd
	s_delay_alu instid0(VALU_DEP_3) | instskip(NEXT) | instid1(VALU_DEP_3)
	v_add_co_ci_u32_e32 v5, vcc_lo, s1, v1, vcc_lo
	v_lshlrev_b64_e32 v[0:1], 4, v[2:3]
	s_mov_b32 s0, 0xc0898b71
	s_mov_b32 s1, 0x3f402e85
	s_wait_alu 0xfffe
	v_mul_f64_e32 v[2:3], s[0:1], v[18:19]
	v_mul_f64_e32 v[6:7], s[0:1], v[42:43]
	v_add_co_u32 v4, vcc_lo, v4, v0
	s_wait_alu 0xfffd
	v_add_co_ci_u32_e32 v5, vcc_lo, v5, v1, vcc_lo
	v_mul_f64_e32 v[0:1], s[0:1], v[16:17]
	v_mul_f64_e32 v[10:11], s[0:1], v[51:52]
	;; [unrolled: 1-line block ×6, first 2 shown]
	global_store_b128 v[4:5], v[0:3], off
	v_mul_f64_e32 v[0:1], s[0:1], v[20:21]
	v_mul_f64_e32 v[2:3], s[0:1], v[22:23]
	v_add_co_u32 v4, vcc_lo, v4, s6
	s_wait_alu 0xfffd
	v_add_co_ci_u32_e32 v5, vcc_lo, s7, v5, vcc_lo
	v_mul_f64_e32 v[20:21], s[0:1], v[61:62]
	v_mul_f64_e32 v[22:23], s[0:1], v[63:64]
	global_store_b128 v[4:5], v[0:3], off
	v_mul_f64_e32 v[0:1], s[0:1], v[24:25]
	v_mul_f64_e32 v[2:3], s[0:1], v[26:27]
	v_add_co_u32 v4, vcc_lo, v4, s6
	s_wait_alu 0xfffd
	v_add_co_ci_u32_e32 v5, vcc_lo, s7, v5, vcc_lo
	v_mul_f64_e32 v[24:25], s[0:1], v[65:66]
	v_mul_f64_e32 v[26:27], s[0:1], v[67:68]
	global_store_b128 v[4:5], v[0:3], off
	v_mul_f64_e32 v[0:1], s[0:1], v[28:29]
	v_mul_f64_e32 v[2:3], s[0:1], v[30:31]
	v_add_co_u32 v4, vcc_lo, v4, s2
	s_wait_alu 0xfffd
	v_add_co_ci_u32_e32 v5, vcc_lo, s3, v5, vcc_lo
	v_mul_f64_e32 v[28:29], s[0:1], v[69:70]
	s_delay_alu instid0(VALU_DEP_3) | instskip(SKIP_1) | instid1(VALU_DEP_3)
	v_add_co_u32 v8, vcc_lo, v4, s6
	s_wait_alu 0xfffd
	v_add_co_ci_u32_e32 v9, vcc_lo, s7, v5, vcc_lo
	v_mul_f64_e32 v[30:31], s[0:1], v[71:72]
	global_store_b128 v[4:5], v[0:3], off
	v_mul_f64_e32 v[0:1], s[0:1], v[32:33]
	v_mul_f64_e32 v[2:3], s[0:1], v[34:35]
	;; [unrolled: 1-line block ×5, first 2 shown]
	global_store_b128 v[8:9], v[0:3], off
	v_mul_f64_e32 v[0:1], s[0:1], v[36:37]
	v_mul_f64_e32 v[2:3], s[0:1], v[38:39]
	v_add_co_u32 v8, vcc_lo, v8, s6
	s_wait_alu 0xfffd
	v_add_co_ci_u32_e32 v9, vcc_lo, s7, v9, vcc_lo
	s_delay_alu instid0(VALU_DEP_2) | instskip(SKIP_1) | instid1(VALU_DEP_2)
	v_add_co_u32 v36, vcc_lo, v8, s2
	s_wait_alu 0xfffd
	v_add_co_ci_u32_e32 v37, vcc_lo, s3, v9, vcc_lo
	s_delay_alu instid0(VALU_DEP_2) | instskip(SKIP_1) | instid1(VALU_DEP_2)
	;; [unrolled: 4-line block ×4, first 2 shown]
	v_add_co_u32 v42, vcc_lo, v40, s2
	s_wait_alu 0xfffd
	v_add_co_ci_u32_e32 v43, vcc_lo, s3, v41, vcc_lo
	global_store_b128 v[8:9], v[0:3], off
	v_mul_f64_e32 v[0:1], s[0:1], v[45:46]
	v_mul_f64_e32 v[2:3], s[0:1], v[47:48]
	;; [unrolled: 1-line block ×3, first 2 shown]
	global_store_b128 v[36:37], v[4:7], off
	v_add_co_u32 v4, vcc_lo, v42, s6
	s_wait_alu 0xfffd
	v_add_co_ci_u32_e32 v5, vcc_lo, s7, v43, vcc_lo
	s_delay_alu instid0(VALU_DEP_2) | instskip(SKIP_1) | instid1(VALU_DEP_2)
	v_add_co_u32 v6, vcc_lo, v4, s6
	s_wait_alu 0xfffd
	v_add_co_ci_u32_e32 v7, vcc_lo, s7, v5, vcc_lo
	s_delay_alu instid0(VALU_DEP_2) | instskip(SKIP_1) | instid1(VALU_DEP_2)
	v_add_co_u32 v36, vcc_lo, v6, s2
	s_wait_alu 0xfffd
	v_add_co_ci_u32_e32 v37, vcc_lo, s3, v7, vcc_lo
	global_store_b128 v[38:39], v[0:3], off
	v_add_co_u32 v0, vcc_lo, v36, s6
	s_wait_alu 0xfffd
	v_add_co_ci_u32_e32 v1, vcc_lo, s7, v37, vcc_lo
	s_delay_alu instid0(VALU_DEP_2) | instskip(SKIP_1) | instid1(VALU_DEP_2)
	v_add_co_u32 v2, vcc_lo, v0, s6
	s_wait_alu 0xfffd
	v_add_co_ci_u32_e32 v3, vcc_lo, s7, v1, vcc_lo
	global_store_b128 v[40:41], v[8:11], off
	global_store_b128 v[42:43], v[12:15], off
	;; [unrolled: 1-line block ×7, first 2 shown]
.LBB0_2:
	s_nop 0
	s_sendmsg sendmsg(MSG_DEALLOC_VGPRS)
	s_endpgm
	.section	.rodata,"a",@progbits
	.p2align	6, 0x0
	.amdhsa_kernel bluestein_single_fwd_len2025_dim1_dp_op_CI_CI
		.amdhsa_group_segment_fixed_size 32400
		.amdhsa_private_segment_fixed_size 532
		.amdhsa_kernarg_size 104
		.amdhsa_user_sgpr_count 2
		.amdhsa_user_sgpr_dispatch_ptr 0
		.amdhsa_user_sgpr_queue_ptr 0
		.amdhsa_user_sgpr_kernarg_segment_ptr 1
		.amdhsa_user_sgpr_dispatch_id 0
		.amdhsa_user_sgpr_private_segment_size 0
		.amdhsa_wavefront_size32 1
		.amdhsa_uses_dynamic_stack 0
		.amdhsa_enable_private_segment 1
		.amdhsa_system_sgpr_workgroup_id_x 1
		.amdhsa_system_sgpr_workgroup_id_y 0
		.amdhsa_system_sgpr_workgroup_id_z 0
		.amdhsa_system_sgpr_workgroup_info 0
		.amdhsa_system_vgpr_workitem_id 0
		.amdhsa_next_free_vgpr 256
		.amdhsa_next_free_sgpr 27
		.amdhsa_reserve_vcc 1
		.amdhsa_float_round_mode_32 0
		.amdhsa_float_round_mode_16_64 0
		.amdhsa_float_denorm_mode_32 3
		.amdhsa_float_denorm_mode_16_64 3
		.amdhsa_fp16_overflow 0
		.amdhsa_workgroup_processor_mode 1
		.amdhsa_memory_ordered 1
		.amdhsa_forward_progress 0
		.amdhsa_round_robin_scheduling 0
		.amdhsa_exception_fp_ieee_invalid_op 0
		.amdhsa_exception_fp_denorm_src 0
		.amdhsa_exception_fp_ieee_div_zero 0
		.amdhsa_exception_fp_ieee_overflow 0
		.amdhsa_exception_fp_ieee_underflow 0
		.amdhsa_exception_fp_ieee_inexact 0
		.amdhsa_exception_int_div_zero 0
	.end_amdhsa_kernel
	.text
.Lfunc_end0:
	.size	bluestein_single_fwd_len2025_dim1_dp_op_CI_CI, .Lfunc_end0-bluestein_single_fwd_len2025_dim1_dp_op_CI_CI
                                        ; -- End function
	.section	.AMDGPU.csdata,"",@progbits
; Kernel info:
; codeLenInByte = 23248
; NumSgprs: 29
; NumVgprs: 256
; ScratchSize: 532
; MemoryBound: 0
; FloatMode: 240
; IeeeMode: 1
; LDSByteSize: 32400 bytes/workgroup (compile time only)
; SGPRBlocks: 3
; VGPRBlocks: 31
; NumSGPRsForWavesPerEU: 29
; NumVGPRsForWavesPerEU: 256
; Occupancy: 5
; WaveLimiterHint : 1
; COMPUTE_PGM_RSRC2:SCRATCH_EN: 1
; COMPUTE_PGM_RSRC2:USER_SGPR: 2
; COMPUTE_PGM_RSRC2:TRAP_HANDLER: 0
; COMPUTE_PGM_RSRC2:TGID_X_EN: 1
; COMPUTE_PGM_RSRC2:TGID_Y_EN: 0
; COMPUTE_PGM_RSRC2:TGID_Z_EN: 0
; COMPUTE_PGM_RSRC2:TIDIG_COMP_CNT: 0
	.text
	.p2alignl 7, 3214868480
	.fill 96, 4, 3214868480
	.type	__hip_cuid_a36e5763e4e5e3a3,@object ; @__hip_cuid_a36e5763e4e5e3a3
	.section	.bss,"aw",@nobits
	.globl	__hip_cuid_a36e5763e4e5e3a3
__hip_cuid_a36e5763e4e5e3a3:
	.byte	0                               ; 0x0
	.size	__hip_cuid_a36e5763e4e5e3a3, 1

	.ident	"AMD clang version 19.0.0git (https://github.com/RadeonOpenCompute/llvm-project roc-6.4.0 25133 c7fe45cf4b819c5991fe208aaa96edf142730f1d)"
	.section	".note.GNU-stack","",@progbits
	.addrsig
	.addrsig_sym __hip_cuid_a36e5763e4e5e3a3
	.amdgpu_metadata
---
amdhsa.kernels:
  - .args:
      - .actual_access:  read_only
        .address_space:  global
        .offset:         0
        .size:           8
        .value_kind:     global_buffer
      - .actual_access:  read_only
        .address_space:  global
        .offset:         8
        .size:           8
        .value_kind:     global_buffer
      - .actual_access:  read_only
        .address_space:  global
        .offset:         16
        .size:           8
        .value_kind:     global_buffer
      - .actual_access:  read_only
        .address_space:  global
        .offset:         24
        .size:           8
        .value_kind:     global_buffer
      - .actual_access:  read_only
        .address_space:  global
        .offset:         32
        .size:           8
        .value_kind:     global_buffer
      - .offset:         40
        .size:           8
        .value_kind:     by_value
      - .address_space:  global
        .offset:         48
        .size:           8
        .value_kind:     global_buffer
      - .address_space:  global
        .offset:         56
        .size:           8
        .value_kind:     global_buffer
      - .address_space:  global
        .offset:         64
        .size:           8
        .value_kind:     global_buffer
      - .address_space:  global
        .offset:         72
        .size:           8
        .value_kind:     global_buffer
      - .offset:         80
        .size:           4
        .value_kind:     by_value
      - .address_space:  global
        .offset:         88
        .size:           8
        .value_kind:     global_buffer
      - .address_space:  global
        .offset:         96
        .size:           8
        .value_kind:     global_buffer
    .group_segment_fixed_size: 32400
    .kernarg_segment_align: 8
    .kernarg_segment_size: 104
    .language:       OpenCL C
    .language_version:
      - 2
      - 0
    .max_flat_workgroup_size: 135
    .name:           bluestein_single_fwd_len2025_dim1_dp_op_CI_CI
    .private_segment_fixed_size: 532
    .sgpr_count:     29
    .sgpr_spill_count: 0
    .symbol:         bluestein_single_fwd_len2025_dim1_dp_op_CI_CI.kd
    .uniform_work_group_size: 1
    .uses_dynamic_stack: false
    .vgpr_count:     256
    .vgpr_spill_count: 132
    .wavefront_size: 32
    .workgroup_processor_mode: 1
amdhsa.target:   amdgcn-amd-amdhsa--gfx1201
amdhsa.version:
  - 1
  - 2
...

	.end_amdgpu_metadata
